;; amdgpu-corpus repo=ROCm/rocFFT kind=compiled arch=gfx906 opt=O3
	.text
	.amdgcn_target "amdgcn-amd-amdhsa--gfx906"
	.amdhsa_code_object_version 6
	.protected	fft_rtc_back_len2160_factors_10_6_6_6_wgs_60_tpt_60_halfLds_dp_ip_CI_unitstride_sbrr_C2R_dirReg ; -- Begin function fft_rtc_back_len2160_factors_10_6_6_6_wgs_60_tpt_60_halfLds_dp_ip_CI_unitstride_sbrr_C2R_dirReg
	.globl	fft_rtc_back_len2160_factors_10_6_6_6_wgs_60_tpt_60_halfLds_dp_ip_CI_unitstride_sbrr_C2R_dirReg
	.p2align	8
	.type	fft_rtc_back_len2160_factors_10_6_6_6_wgs_60_tpt_60_halfLds_dp_ip_CI_unitstride_sbrr_C2R_dirReg,@function
fft_rtc_back_len2160_factors_10_6_6_6_wgs_60_tpt_60_halfLds_dp_ip_CI_unitstride_sbrr_C2R_dirReg: ; @fft_rtc_back_len2160_factors_10_6_6_6_wgs_60_tpt_60_halfLds_dp_ip_CI_unitstride_sbrr_C2R_dirReg
; %bb.0:
	s_mov_b64 s[30:31], s[2:3]
	s_mov_b64 s[28:29], s[0:1]
	s_load_dwordx2 s[2:3], s[4:5], 0x50
	s_load_dwordx4 s[8:11], s[4:5], 0x0
	s_load_dwordx2 s[12:13], s[4:5], 0x18
	v_mul_u32_u24_e32 v1, 0x445, v0
	s_add_u32 s28, s28, s7
	v_add_u32_sdwa v5, s6, v1 dst_sel:DWORD dst_unused:UNUSED_PAD src0_sel:DWORD src1_sel:WORD_1
	s_waitcnt lgkmcnt(0)
	v_cmp_lt_u64_e64 s[0:1], s[10:11], 2
	v_mov_b32_e32 v3, 0
	v_mov_b32_e32 v1, 0
	s_addc_u32 s29, s29, 0
	v_mov_b32_e32 v6, v3
	s_and_b64 vcc, exec, s[0:1]
	v_mov_b32_e32 v2, 0
	s_cbranch_vccnz .LBB0_8
; %bb.1:
	s_load_dwordx2 s[0:1], s[4:5], 0x10
	s_add_u32 s6, s12, 8
	s_addc_u32 s7, s13, 0
	v_mov_b32_e32 v1, 0
	v_mov_b32_e32 v2, 0
	s_waitcnt lgkmcnt(0)
	s_add_u32 s14, s0, 8
	s_addc_u32 s15, s1, 0
	s_mov_b64 s[16:17], 1
.LBB0_2:                                ; =>This Inner Loop Header: Depth=1
	s_load_dwordx2 s[18:19], s[14:15], 0x0
                                        ; implicit-def: $vgpr7_vgpr8
	s_waitcnt lgkmcnt(0)
	v_or_b32_e32 v4, s19, v6
	v_cmp_ne_u64_e32 vcc, 0, v[3:4]
	s_and_saveexec_b64 s[0:1], vcc
	s_xor_b64 s[20:21], exec, s[0:1]
	s_cbranch_execz .LBB0_4
; %bb.3:                                ;   in Loop: Header=BB0_2 Depth=1
	v_cvt_f32_u32_e32 v4, s18
	v_cvt_f32_u32_e32 v7, s19
	s_sub_u32 s0, 0, s18
	s_subb_u32 s1, 0, s19
	v_mac_f32_e32 v4, 0x4f800000, v7
	v_rcp_f32_e32 v4, v4
	v_mul_f32_e32 v4, 0x5f7ffffc, v4
	v_mul_f32_e32 v7, 0x2f800000, v4
	v_trunc_f32_e32 v7, v7
	v_mac_f32_e32 v4, 0xcf800000, v7
	v_cvt_u32_f32_e32 v7, v7
	v_cvt_u32_f32_e32 v4, v4
	v_mul_lo_u32 v8, s0, v7
	v_mul_hi_u32 v9, s0, v4
	v_mul_lo_u32 v11, s1, v4
	v_mul_lo_u32 v10, s0, v4
	v_add_u32_e32 v8, v9, v8
	v_add_u32_e32 v8, v8, v11
	v_mul_hi_u32 v9, v4, v10
	v_mul_lo_u32 v11, v4, v8
	v_mul_hi_u32 v13, v4, v8
	v_mul_hi_u32 v12, v7, v10
	v_mul_lo_u32 v10, v7, v10
	v_mul_hi_u32 v14, v7, v8
	v_add_co_u32_e32 v9, vcc, v9, v11
	v_addc_co_u32_e32 v11, vcc, 0, v13, vcc
	v_mul_lo_u32 v8, v7, v8
	v_add_co_u32_e32 v9, vcc, v9, v10
	v_addc_co_u32_e32 v9, vcc, v11, v12, vcc
	v_addc_co_u32_e32 v10, vcc, 0, v14, vcc
	v_add_co_u32_e32 v8, vcc, v9, v8
	v_addc_co_u32_e32 v9, vcc, 0, v10, vcc
	v_add_co_u32_e32 v4, vcc, v4, v8
	v_addc_co_u32_e32 v7, vcc, v7, v9, vcc
	v_mul_lo_u32 v8, s0, v7
	v_mul_hi_u32 v9, s0, v4
	v_mul_lo_u32 v10, s1, v4
	v_mul_lo_u32 v11, s0, v4
	v_add_u32_e32 v8, v9, v8
	v_add_u32_e32 v8, v8, v10
	v_mul_lo_u32 v12, v4, v8
	v_mul_hi_u32 v13, v4, v11
	v_mul_hi_u32 v14, v4, v8
	v_mul_hi_u32 v10, v7, v11
	v_mul_lo_u32 v11, v7, v11
	v_mul_hi_u32 v9, v7, v8
	v_add_co_u32_e32 v12, vcc, v13, v12
	v_addc_co_u32_e32 v13, vcc, 0, v14, vcc
	v_mul_lo_u32 v8, v7, v8
	v_add_co_u32_e32 v11, vcc, v12, v11
	v_addc_co_u32_e32 v10, vcc, v13, v10, vcc
	v_addc_co_u32_e32 v9, vcc, 0, v9, vcc
	v_add_co_u32_e32 v8, vcc, v10, v8
	v_addc_co_u32_e32 v9, vcc, 0, v9, vcc
	v_add_co_u32_e32 v4, vcc, v4, v8
	v_addc_co_u32_e32 v9, vcc, v7, v9, vcc
	v_mad_u64_u32 v[7:8], s[0:1], v5, v9, 0
	v_mul_hi_u32 v10, v5, v4
	v_add_co_u32_e32 v11, vcc, v10, v7
	v_addc_co_u32_e32 v12, vcc, 0, v8, vcc
	v_mad_u64_u32 v[7:8], s[0:1], v6, v4, 0
	v_mad_u64_u32 v[9:10], s[0:1], v6, v9, 0
	v_add_co_u32_e32 v4, vcc, v11, v7
	v_addc_co_u32_e32 v4, vcc, v12, v8, vcc
	v_addc_co_u32_e32 v7, vcc, 0, v10, vcc
	v_add_co_u32_e32 v4, vcc, v4, v9
	v_addc_co_u32_e32 v9, vcc, 0, v7, vcc
	v_mul_lo_u32 v10, s19, v4
	v_mul_lo_u32 v11, s18, v9
	v_mad_u64_u32 v[7:8], s[0:1], s18, v4, 0
	v_add3_u32 v8, v8, v11, v10
	v_sub_u32_e32 v10, v6, v8
	v_mov_b32_e32 v11, s19
	v_sub_co_u32_e32 v7, vcc, v5, v7
	v_subb_co_u32_e64 v10, s[0:1], v10, v11, vcc
	v_subrev_co_u32_e64 v11, s[0:1], s18, v7
	v_subbrev_co_u32_e64 v10, s[0:1], 0, v10, s[0:1]
	v_cmp_le_u32_e64 s[0:1], s19, v10
	v_cndmask_b32_e64 v12, 0, -1, s[0:1]
	v_cmp_le_u32_e64 s[0:1], s18, v11
	v_cndmask_b32_e64 v11, 0, -1, s[0:1]
	v_cmp_eq_u32_e64 s[0:1], s19, v10
	v_cndmask_b32_e64 v10, v12, v11, s[0:1]
	v_add_co_u32_e64 v11, s[0:1], 2, v4
	v_addc_co_u32_e64 v12, s[0:1], 0, v9, s[0:1]
	v_add_co_u32_e64 v13, s[0:1], 1, v4
	v_addc_co_u32_e64 v14, s[0:1], 0, v9, s[0:1]
	v_subb_co_u32_e32 v8, vcc, v6, v8, vcc
	v_cmp_ne_u32_e64 s[0:1], 0, v10
	v_cmp_le_u32_e32 vcc, s19, v8
	v_cndmask_b32_e64 v10, v14, v12, s[0:1]
	v_cndmask_b32_e64 v12, 0, -1, vcc
	v_cmp_le_u32_e32 vcc, s18, v7
	v_cndmask_b32_e64 v7, 0, -1, vcc
	v_cmp_eq_u32_e32 vcc, s19, v8
	v_cndmask_b32_e32 v7, v12, v7, vcc
	v_cmp_ne_u32_e32 vcc, 0, v7
	v_cndmask_b32_e64 v7, v13, v11, s[0:1]
	v_cndmask_b32_e32 v8, v9, v10, vcc
	v_cndmask_b32_e32 v7, v4, v7, vcc
.LBB0_4:                                ;   in Loop: Header=BB0_2 Depth=1
	s_andn2_saveexec_b64 s[0:1], s[20:21]
	s_cbranch_execz .LBB0_6
; %bb.5:                                ;   in Loop: Header=BB0_2 Depth=1
	v_cvt_f32_u32_e32 v4, s18
	s_sub_i32 s20, 0, s18
	v_rcp_iflag_f32_e32 v4, v4
	v_mul_f32_e32 v4, 0x4f7ffffe, v4
	v_cvt_u32_f32_e32 v4, v4
	v_mul_lo_u32 v7, s20, v4
	v_mul_hi_u32 v7, v4, v7
	v_add_u32_e32 v4, v4, v7
	v_mul_hi_u32 v4, v5, v4
	v_mul_lo_u32 v7, v4, s18
	v_add_u32_e32 v8, 1, v4
	v_sub_u32_e32 v7, v5, v7
	v_subrev_u32_e32 v9, s18, v7
	v_cmp_le_u32_e32 vcc, s18, v7
	v_cndmask_b32_e32 v7, v7, v9, vcc
	v_cndmask_b32_e32 v4, v4, v8, vcc
	v_add_u32_e32 v8, 1, v4
	v_cmp_le_u32_e32 vcc, s18, v7
	v_cndmask_b32_e32 v7, v4, v8, vcc
	v_mov_b32_e32 v8, v3
.LBB0_6:                                ;   in Loop: Header=BB0_2 Depth=1
	s_or_b64 exec, exec, s[0:1]
	v_mul_lo_u32 v4, v8, s18
	v_mul_lo_u32 v11, v7, s19
	v_mad_u64_u32 v[9:10], s[0:1], v7, s18, 0
	s_load_dwordx2 s[0:1], s[6:7], 0x0
	s_add_u32 s16, s16, 1
	v_add3_u32 v4, v10, v11, v4
	v_sub_co_u32_e32 v5, vcc, v5, v9
	v_subb_co_u32_e32 v4, vcc, v6, v4, vcc
	s_waitcnt lgkmcnt(0)
	v_mul_lo_u32 v4, s0, v4
	v_mul_lo_u32 v6, s1, v5
	v_mad_u64_u32 v[1:2], s[0:1], s0, v5, v[1:2]
	s_addc_u32 s17, s17, 0
	s_add_u32 s6, s6, 8
	v_add3_u32 v2, v6, v2, v4
	v_mov_b32_e32 v4, s10
	v_mov_b32_e32 v5, s11
	s_addc_u32 s7, s7, 0
	v_cmp_ge_u64_e32 vcc, s[16:17], v[4:5]
	s_add_u32 s14, s14, 8
	s_addc_u32 s15, s15, 0
	s_cbranch_vccnz .LBB0_9
; %bb.7:                                ;   in Loop: Header=BB0_2 Depth=1
	v_mov_b32_e32 v5, v7
	v_mov_b32_e32 v6, v8
	s_branch .LBB0_2
.LBB0_8:
	v_mov_b32_e32 v8, v6
	v_mov_b32_e32 v7, v5
.LBB0_9:
	s_lshl_b64 s[0:1], s[10:11], 3
	s_add_u32 s0, s12, s0
	s_addc_u32 s1, s13, s1
	s_load_dwordx2 s[6:7], s[0:1], 0x0
	s_load_dwordx2 s[10:11], s[4:5], 0x20
	s_waitcnt lgkmcnt(0)
	v_mad_u64_u32 v[1:2], s[0:1], s6, v7, v[1:2]
	v_mul_lo_u32 v3, s6, v8
	v_mul_lo_u32 v4, s7, v7
	s_mov_b32 s0, 0x4444445
	v_mul_hi_u32 v5, v0, s0
	v_cmp_gt_u64_e64 s[0:1], s[10:11], v[7:8]
	v_add3_u32 v2, v4, v2, v3
	v_lshlrev_b64 v[1:2], 4, v[1:2]
	v_mul_u32_u24_e32 v3, 60, v5
	v_sub_u32_e32 v112, v0, v3
	buffer_store_dword v1, off, s[28:31], 0 ; 4-byte Folded Spill
	s_nop 0
	buffer_store_dword v2, off, s[28:31], 0 offset:4 ; 4-byte Folded Spill
	s_and_saveexec_b64 s[4:5], s[0:1]
	s_cbranch_execz .LBB0_13
; %bb.10:
	buffer_load_dword v1, off, s[28:31], 0  ; 4-byte Folded Reload
	buffer_load_dword v2, off, s[28:31], 0 offset:4 ; 4-byte Folded Reload
	v_mov_b32_e32 v113, 0
	v_mov_b32_e32 v0, s3
	s_movk_i32 s6, 0x1000
	v_or_b32_e32 v136, 0x780, v112
	v_mov_b32_e32 v137, v113
	v_lshlrev_b64 v[136:137], 4, v[136:137]
	s_waitcnt vmcnt(1)
	v_add_co_u32_e32 v1, vcc, s2, v1
	s_waitcnt vmcnt(0)
	v_addc_co_u32_e32 v0, vcc, v0, v2, vcc
	v_lshlrev_b64 v[2:3], 4, v[112:113]
	v_add_co_u32_e32 v110, vcc, v1, v2
	v_addc_co_u32_e32 v111, vcc, v0, v3, vcc
	v_add_co_u32_e32 v50, vcc, s6, v110
	v_addc_co_u32_e32 v51, vcc, 0, v111, vcc
	s_movk_i32 s6, 0x2000
	v_add_co_u32_e32 v66, vcc, s6, v110
	v_addc_co_u32_e32 v67, vcc, 0, v111, vcc
	s_movk_i32 s6, 0x3000
	v_add_co_u32_e32 v82, vcc, s6, v110
	global_load_dwordx4 v[2:5], v[110:111], off
	global_load_dwordx4 v[6:9], v[110:111], off offset:960
	global_load_dwordx4 v[10:13], v[110:111], off offset:1920
	;; [unrolled: 1-line block ×11, first 2 shown]
	v_addc_co_u32_e32 v83, vcc, 0, v111, vcc
	global_load_dwordx4 v[50:53], v[66:67], off offset:3328
	global_load_dwordx4 v[54:57], v[82:83], off offset:192
	;; [unrolled: 1-line block ×4, first 2 shown]
	v_or_b32_e32 v66, 0x3c0, v112
	v_mov_b32_e32 v67, v113
	v_lshlrev_b64 v[66:67], 4, v[66:67]
	s_movk_i32 s6, 0x4000
	v_add_co_u32_e32 v84, vcc, v1, v66
	v_addc_co_u32_e32 v85, vcc, v0, v67, vcc
	v_add_co_u32_e32 v90, vcc, s6, v110
	v_addc_co_u32_e32 v91, vcc, 0, v111, vcc
	s_movk_i32 s6, 0x5000
	v_add_co_u32_e32 v106, vcc, s6, v110
	v_addc_co_u32_e32 v107, vcc, 0, v111, vcc
	s_movk_i32 s6, 0x6000
	;; [unrolled: 3-line block ×3, first 2 shown]
	v_add_co_u32_e32 v144, vcc, s6, v110
	v_addc_co_u32_e32 v145, vcc, 0, v111, vcc
	v_add_co_u32_e32 v136, vcc, v1, v136
	v_addc_co_u32_e32 v137, vcc, v0, v137, vcc
	v_add_co_u32_e32 v110, vcc, 0x8000, v110
	global_load_dwordx4 v[66:69], v[84:85], off
	global_load_dwordx4 v[70:73], v[82:83], off offset:4032
	global_load_dwordx4 v[74:77], v[90:91], off offset:896
	;; [unrolled: 1-line block ×3, first 2 shown]
	s_nop 0
	global_load_dwordx4 v[82:85], v[90:91], off offset:2816
	global_load_dwordx4 v[86:89], v[90:91], off offset:3776
	s_nop 0
	global_load_dwordx4 v[90:93], v[106:107], off offset:640
	global_load_dwordx4 v[94:97], v[106:107], off offset:1600
	;; [unrolled: 1-line block ×4, first 2 shown]
	s_nop 0
	global_load_dwordx4 v[106:109], v[124:125], off offset:384
	global_load_dwordx4 v[116:119], v[124:125], off offset:1344
	;; [unrolled: 1-line block ×3, first 2 shown]
	s_nop 0
	global_load_dwordx4 v[124:127], v[124:125], off offset:3264
	s_nop 0
	global_load_dwordx4 v[128:131], v[144:145], off offset:128
	global_load_dwordx4 v[132:135], v[144:145], off offset:1088
	v_addc_co_u32_e32 v111, vcc, 0, v111, vcc
	global_load_dwordx4 v[136:139], v[136:137], off
	s_nop 0
	global_load_dwordx4 v[140:143], v[144:145], off offset:3008
	s_nop 0
	global_load_dwordx4 v[144:147], v[144:145], off offset:3968
	;; [unrolled: 2-line block ×3, first 2 shown]
	v_lshl_add_u32 v110, v112, 4, 0
	v_cmp_eq_u32_e32 vcc, 59, v112
	s_waitcnt vmcnt(35)
	ds_write_b128 v110, v[2:5]
	s_waitcnt vmcnt(34)
	ds_write_b128 v110, v[6:9] offset:960
	s_waitcnt vmcnt(33)
	ds_write_b128 v110, v[10:13] offset:1920
	s_waitcnt vmcnt(32)
	ds_write_b128 v110, v[14:17] offset:2880
	s_waitcnt vmcnt(31)
	ds_write_b128 v110, v[18:21] offset:3840
	s_waitcnt vmcnt(30)
	ds_write_b128 v110, v[22:25] offset:4800
	s_waitcnt vmcnt(29)
	ds_write_b128 v110, v[26:29] offset:5760
	s_waitcnt vmcnt(28)
	ds_write_b128 v110, v[30:33] offset:6720
	s_waitcnt vmcnt(27)
	ds_write_b128 v110, v[34:37] offset:7680
	s_waitcnt vmcnt(26)
	ds_write_b128 v110, v[38:41] offset:8640
	s_waitcnt vmcnt(25)
	ds_write_b128 v110, v[42:45] offset:9600
	s_waitcnt vmcnt(24)
	ds_write_b128 v110, v[46:49] offset:10560
	s_waitcnt vmcnt(23)
	ds_write_b128 v110, v[50:53] offset:11520
	s_waitcnt vmcnt(22)
	ds_write_b128 v110, v[54:57] offset:12480
	s_waitcnt vmcnt(21)
	ds_write_b128 v110, v[58:61] offset:13440
	s_waitcnt vmcnt(20)
	ds_write_b128 v110, v[62:65] offset:14400
	s_waitcnt vmcnt(19)
	ds_write_b128 v110, v[66:69] offset:15360
	s_waitcnt vmcnt(18)
	ds_write_b128 v110, v[70:73] offset:16320
	s_waitcnt vmcnt(17)
	ds_write_b128 v110, v[74:77] offset:17280
	s_waitcnt vmcnt(16)
	ds_write_b128 v110, v[78:81] offset:18240
	s_waitcnt vmcnt(15)
	ds_write_b128 v110, v[82:85] offset:19200
	s_waitcnt vmcnt(14)
	ds_write_b128 v110, v[86:89] offset:20160
	s_waitcnt vmcnt(13)
	ds_write_b128 v110, v[90:93] offset:21120
	s_waitcnt vmcnt(12)
	ds_write_b128 v110, v[94:97] offset:22080
	s_waitcnt vmcnt(11)
	ds_write_b128 v110, v[98:101] offset:23040
	s_waitcnt vmcnt(10)
	ds_write_b128 v110, v[102:105] offset:24000
	s_waitcnt vmcnt(9)
	ds_write_b128 v110, v[106:109] offset:24960
	s_waitcnt vmcnt(8)
	ds_write_b128 v110, v[116:119] offset:25920
	s_waitcnt vmcnt(7)
	ds_write_b128 v110, v[120:123] offset:26880
	s_waitcnt vmcnt(6)
	ds_write_b128 v110, v[124:127] offset:27840
	s_waitcnt vmcnt(5)
	ds_write_b128 v110, v[128:131] offset:28800
	s_waitcnt vmcnt(4)
	ds_write_b128 v110, v[132:135] offset:29760
	s_waitcnt vmcnt(3)
	ds_write_b128 v110, v[136:139] offset:30720
	s_waitcnt vmcnt(2)
	ds_write_b128 v110, v[140:143] offset:31680
	s_waitcnt vmcnt(1)
	ds_write_b128 v110, v[144:147] offset:32640
	s_waitcnt vmcnt(0)
	ds_write_b128 v110, v[148:151] offset:33600
	s_and_saveexec_b64 s[6:7], vcc
	s_cbranch_execz .LBB0_12
; %bb.11:
	v_add_co_u32_e32 v1, vcc, 0x8000, v1
	v_addc_co_u32_e32 v2, vcc, 0, v0, vcc
	global_load_dwordx4 v[0:3], v[1:2], off offset:1792
	v_mov_b32_e32 v112, 59
	s_waitcnt vmcnt(0)
	ds_write_b128 v113, v[0:3] offset:34560
.LBB0_12:
	s_or_b64 exec, exec, s[6:7]
.LBB0_13:
	s_or_b64 exec, exec, s[4:5]
	v_lshlrev_b32_e32 v0, 4, v112
	v_add_u32_e32 v116, 0, v0
	s_waitcnt lgkmcnt(0)
	; wave barrier
	s_waitcnt lgkmcnt(0)
	v_sub_u32_e32 v12, 0, v0
	ds_read_b64 v[6:7], v116
	ds_read_b64 v[8:9], v12 offset:34560
	s_add_u32 s6, s8, 0x8660
	s_addc_u32 s7, s9, 0
	v_cmp_ne_u32_e32 vcc, 0, v112
                                        ; implicit-def: $vgpr4_vgpr5
	s_waitcnt lgkmcnt(0)
	v_add_f64 v[0:1], v[6:7], v[8:9]
	v_add_f64 v[2:3], v[6:7], -v[8:9]
	s_and_saveexec_b64 s[4:5], vcc
	s_xor_b64 s[4:5], exec, s[4:5]
	s_cbranch_execz .LBB0_15
; %bb.14:
	v_mov_b32_e32 v113, 0
	v_lshlrev_b64 v[0:1], 4, v[112:113]
	v_mov_b32_e32 v2, s7
	v_add_co_u32_e32 v0, vcc, s6, v0
	v_addc_co_u32_e32 v1, vcc, v2, v1, vcc
	global_load_dwordx4 v[2:5], v[0:1], off
	ds_read_b64 v[0:1], v12 offset:34568
	ds_read_b64 v[10:11], v116 offset:8
	v_add_f64 v[13:14], v[6:7], v[8:9]
	v_add_f64 v[8:9], v[6:7], -v[8:9]
	s_waitcnt lgkmcnt(0)
	v_add_f64 v[15:16], v[0:1], v[10:11]
	v_add_f64 v[0:1], v[10:11], -v[0:1]
	s_waitcnt vmcnt(0)
	v_fma_f64 v[6:7], -v[8:9], v[4:5], v[13:14]
	v_fma_f64 v[10:11], v[15:16], v[4:5], -v[0:1]
	v_fma_f64 v[13:14], v[8:9], v[4:5], v[13:14]
	v_fma_f64 v[17:18], v[15:16], v[4:5], v[0:1]
	;; [unrolled: 1-line block ×4, first 2 shown]
	v_fma_f64 v[0:1], -v[15:16], v[2:3], v[13:14]
	v_fma_f64 v[2:3], v[8:9], v[2:3], v[17:18]
	ds_write_b128 v12, v[4:7] offset:34560
	v_mov_b32_e32 v4, v112
	v_mov_b32_e32 v5, v113
.LBB0_15:
	s_andn2_saveexec_b64 s[4:5], s[4:5]
	s_cbranch_execz .LBB0_17
; %bb.16:
	v_mov_b32_e32 v13, 0
	ds_read_b128 v[4:7], v13 offset:17280
	s_waitcnt lgkmcnt(0)
	v_add_f64 v[8:9], v[4:5], v[4:5]
	v_mul_f64 v[10:11], v[6:7], -2.0
	v_mov_b32_e32 v4, 0
	v_mov_b32_e32 v5, 0
	ds_write_b128 v13, v[8:11] offset:17280
.LBB0_17:
	s_or_b64 exec, exec, s[4:5]
	v_lshlrev_b64 v[4:5], 4, v[4:5]
	v_mov_b32_e32 v6, s7
	v_add_co_u32_e32 v4, vcc, s6, v4
	v_addc_co_u32_e32 v5, vcc, v6, v5, vcc
	global_load_dwordx4 v[6:9], v[4:5], off offset:960
	global_load_dwordx4 v[13:16], v[4:5], off offset:1920
	ds_write_b128 v116, v[0:3]
	ds_read_b128 v[0:3], v116 offset:960
	ds_read_b128 v[17:20], v12 offset:33600
	global_load_dwordx4 v[21:24], v[4:5], off offset:2880
	s_movk_i32 s24, 0x1000
	s_movk_i32 s25, 0x2000
	s_movk_i32 s26, 0x3000
	s_waitcnt lgkmcnt(0)
	v_add_f64 v[10:11], v[0:1], v[17:18]
	v_add_f64 v[25:26], v[19:20], v[2:3]
	v_add_f64 v[17:18], v[0:1], -v[17:18]
	v_add_f64 v[0:1], v[2:3], -v[19:20]
	s_mov_b32 s4, 0x134454ff
	s_mov_b32 s5, 0xbfee6f0e
	;; [unrolled: 1-line block ×13, first 2 shown]
	v_mul_u32_u24_e32 v113, 10, v112
	v_lshl_add_u32 v113, v113, 4, 0
	s_waitcnt vmcnt(2)
	v_fma_f64 v[2:3], v[17:18], v[8:9], v[10:11]
	v_fma_f64 v[19:20], v[25:26], v[8:9], v[0:1]
	v_fma_f64 v[10:11], -v[17:18], v[8:9], v[10:11]
	v_fma_f64 v[27:28], v[25:26], v[8:9], -v[0:1]
	v_fma_f64 v[0:1], -v[25:26], v[6:7], v[2:3]
	v_fma_f64 v[2:3], v[17:18], v[6:7], v[19:20]
	v_fma_f64 v[8:9], v[25:26], v[6:7], v[10:11]
	;; [unrolled: 1-line block ×3, first 2 shown]
	ds_write_b128 v116, v[0:3] offset:960
	ds_write_b128 v12, v[8:11] offset:33600
	ds_read_b128 v[0:3], v116 offset:1920
	ds_read_b128 v[6:9], v12 offset:32640
	global_load_dwordx4 v[17:20], v[4:5], off offset:3840
	s_waitcnt lgkmcnt(0)
	v_add_f64 v[10:11], v[0:1], v[6:7]
	v_add_f64 v[25:26], v[8:9], v[2:3]
	v_add_f64 v[27:28], v[0:1], -v[6:7]
	v_add_f64 v[0:1], v[2:3], -v[8:9]
	s_waitcnt vmcnt(2)
	v_fma_f64 v[2:3], v[27:28], v[15:16], v[10:11]
	v_fma_f64 v[6:7], v[25:26], v[15:16], v[0:1]
	v_fma_f64 v[8:9], -v[27:28], v[15:16], v[10:11]
	v_fma_f64 v[10:11], v[25:26], v[15:16], -v[0:1]
	v_fma_f64 v[0:1], -v[25:26], v[13:14], v[2:3]
	v_fma_f64 v[2:3], v[27:28], v[13:14], v[6:7]
	v_fma_f64 v[6:7], v[25:26], v[13:14], v[8:9]
	;; [unrolled: 1-line block ×3, first 2 shown]
	v_add_co_u32_e32 v10, vcc, s24, v4
	ds_write_b128 v116, v[0:3] offset:1920
	ds_write_b128 v12, v[6:9] offset:32640
	v_addc_co_u32_e32 v11, vcc, 0, v5, vcc
	ds_read_b128 v[0:3], v116 offset:2880
	ds_read_b128 v[6:9], v12 offset:31680
	global_load_dwordx4 v[13:16], v[10:11], off offset:704
	s_waitcnt lgkmcnt(0)
	v_add_f64 v[25:26], v[0:1], v[6:7]
	v_add_f64 v[27:28], v[8:9], v[2:3]
	v_add_f64 v[29:30], v[0:1], -v[6:7]
	v_add_f64 v[0:1], v[2:3], -v[8:9]
	s_waitcnt vmcnt(2)
	v_fma_f64 v[2:3], v[29:30], v[23:24], v[25:26]
	v_fma_f64 v[6:7], v[27:28], v[23:24], v[0:1]
	v_fma_f64 v[8:9], -v[29:30], v[23:24], v[25:26]
	v_fma_f64 v[23:24], v[27:28], v[23:24], -v[0:1]
	v_fma_f64 v[0:1], -v[27:28], v[21:22], v[2:3]
	v_fma_f64 v[2:3], v[29:30], v[21:22], v[6:7]
	v_fma_f64 v[6:7], v[27:28], v[21:22], v[8:9]
	v_fma_f64 v[8:9], v[29:30], v[21:22], v[23:24]
	ds_write_b128 v116, v[0:3] offset:2880
	ds_write_b128 v12, v[6:9] offset:31680
	ds_read_b128 v[0:3], v116 offset:3840
	ds_read_b128 v[6:9], v12 offset:30720
	global_load_dwordx4 v[21:24], v[10:11], off offset:1664
	s_waitcnt lgkmcnt(0)
	v_add_f64 v[25:26], v[0:1], v[6:7]
	v_add_f64 v[27:28], v[8:9], v[2:3]
	v_add_f64 v[29:30], v[0:1], -v[6:7]
	v_add_f64 v[0:1], v[2:3], -v[8:9]
	s_waitcnt vmcnt(2)
	v_fma_f64 v[2:3], v[29:30], v[19:20], v[25:26]
	v_fma_f64 v[6:7], v[27:28], v[19:20], v[0:1]
	v_fma_f64 v[8:9], -v[29:30], v[19:20], v[25:26]
	v_fma_f64 v[19:20], v[27:28], v[19:20], -v[0:1]
	v_fma_f64 v[0:1], -v[27:28], v[17:18], v[2:3]
	v_fma_f64 v[2:3], v[29:30], v[17:18], v[6:7]
	v_fma_f64 v[6:7], v[27:28], v[17:18], v[8:9]
	v_fma_f64 v[8:9], v[29:30], v[17:18], v[19:20]
	ds_write_b128 v116, v[0:3] offset:3840
	ds_write_b128 v12, v[6:9] offset:30720
	;; [unrolled: 19-line block ×3, first 2 shown]
	ds_read_b128 v[0:3], v116 offset:5760
	ds_read_b128 v[6:9], v12 offset:28800
	global_load_dwordx4 v[13:16], v[10:11], off offset:3584
	s_waitcnt lgkmcnt(0)
	v_add_f64 v[10:11], v[0:1], v[6:7]
	v_add_f64 v[25:26], v[8:9], v[2:3]
	v_add_f64 v[27:28], v[0:1], -v[6:7]
	v_add_f64 v[0:1], v[2:3], -v[8:9]
	s_waitcnt vmcnt(2)
	v_fma_f64 v[2:3], v[27:28], v[23:24], v[10:11]
	v_fma_f64 v[6:7], v[25:26], v[23:24], v[0:1]
	v_fma_f64 v[8:9], -v[27:28], v[23:24], v[10:11]
	v_fma_f64 v[10:11], v[25:26], v[23:24], -v[0:1]
	v_fma_f64 v[0:1], -v[25:26], v[21:22], v[2:3]
	v_fma_f64 v[2:3], v[27:28], v[21:22], v[6:7]
	v_fma_f64 v[6:7], v[25:26], v[21:22], v[8:9]
	;; [unrolled: 1-line block ×3, first 2 shown]
	v_add_co_u32_e32 v10, vcc, s25, v4
	ds_write_b128 v116, v[0:3] offset:5760
	ds_write_b128 v12, v[6:9] offset:28800
	v_addc_co_u32_e32 v11, vcc, 0, v5, vcc
	ds_read_b128 v[0:3], v116 offset:6720
	ds_read_b128 v[6:9], v12 offset:27840
	global_load_dwordx4 v[21:24], v[10:11], off offset:448
	s_waitcnt lgkmcnt(0)
	v_add_f64 v[25:26], v[0:1], v[6:7]
	v_add_f64 v[27:28], v[8:9], v[2:3]
	v_add_f64 v[29:30], v[0:1], -v[6:7]
	v_add_f64 v[0:1], v[2:3], -v[8:9]
	s_waitcnt vmcnt(2)
	v_fma_f64 v[2:3], v[29:30], v[19:20], v[25:26]
	v_fma_f64 v[6:7], v[27:28], v[19:20], v[0:1]
	v_fma_f64 v[8:9], -v[29:30], v[19:20], v[25:26]
	v_fma_f64 v[19:20], v[27:28], v[19:20], -v[0:1]
	v_fma_f64 v[0:1], -v[27:28], v[17:18], v[2:3]
	v_fma_f64 v[2:3], v[29:30], v[17:18], v[6:7]
	v_fma_f64 v[6:7], v[27:28], v[17:18], v[8:9]
	v_fma_f64 v[8:9], v[29:30], v[17:18], v[19:20]
	ds_write_b128 v116, v[0:3] offset:6720
	ds_write_b128 v12, v[6:9] offset:27840
	ds_read_b128 v[0:3], v116 offset:7680
	ds_read_b128 v[6:9], v12 offset:26880
	global_load_dwordx4 v[17:20], v[10:11], off offset:1408
	s_waitcnt lgkmcnt(0)
	v_add_f64 v[25:26], v[0:1], v[6:7]
	v_add_f64 v[27:28], v[8:9], v[2:3]
	v_add_f64 v[29:30], v[0:1], -v[6:7]
	v_add_f64 v[0:1], v[2:3], -v[8:9]
	s_waitcnt vmcnt(2)
	v_fma_f64 v[2:3], v[29:30], v[15:16], v[25:26]
	v_fma_f64 v[6:7], v[27:28], v[15:16], v[0:1]
	v_fma_f64 v[8:9], -v[29:30], v[15:16], v[25:26]
	v_fma_f64 v[15:16], v[27:28], v[15:16], -v[0:1]
	v_fma_f64 v[0:1], -v[27:28], v[13:14], v[2:3]
	v_fma_f64 v[2:3], v[29:30], v[13:14], v[6:7]
	v_fma_f64 v[6:7], v[27:28], v[13:14], v[8:9]
	v_fma_f64 v[8:9], v[29:30], v[13:14], v[15:16]
	ds_write_b128 v116, v[0:3] offset:7680
	ds_write_b128 v12, v[6:9] offset:26880
	;; [unrolled: 19-line block ×3, first 2 shown]
	ds_read_b128 v[0:3], v116 offset:9600
	ds_read_b128 v[6:9], v12 offset:24960
	global_load_dwordx4 v[21:24], v[10:11], off offset:3328
	s_waitcnt lgkmcnt(0)
	v_add_f64 v[10:11], v[0:1], v[6:7]
	v_add_f64 v[25:26], v[8:9], v[2:3]
	v_add_f64 v[27:28], v[0:1], -v[6:7]
	v_add_f64 v[0:1], v[2:3], -v[8:9]
	s_waitcnt vmcnt(2)
	v_fma_f64 v[2:3], v[27:28], v[19:20], v[10:11]
	v_fma_f64 v[6:7], v[25:26], v[19:20], v[0:1]
	v_fma_f64 v[8:9], -v[27:28], v[19:20], v[10:11]
	v_fma_f64 v[10:11], v[25:26], v[19:20], -v[0:1]
	v_fma_f64 v[0:1], -v[25:26], v[17:18], v[2:3]
	v_fma_f64 v[2:3], v[27:28], v[17:18], v[6:7]
	v_fma_f64 v[6:7], v[25:26], v[17:18], v[8:9]
	;; [unrolled: 1-line block ×3, first 2 shown]
	v_add_co_u32_e32 v25, vcc, s26, v4
	ds_write_b128 v116, v[0:3] offset:9600
	ds_write_b128 v12, v[6:9] offset:24960
	v_addc_co_u32_e32 v26, vcc, 0, v5, vcc
	ds_read_b128 v[0:3], v116 offset:10560
	ds_read_b128 v[6:9], v12 offset:24000
	global_load_dwordx4 v[17:20], v[25:26], off offset:192
	s_waitcnt lgkmcnt(0)
	v_add_f64 v[4:5], v[0:1], v[6:7]
	v_add_f64 v[10:11], v[8:9], v[2:3]
	v_add_f64 v[6:7], v[0:1], -v[6:7]
	v_add_f64 v[0:1], v[2:3], -v[8:9]
	s_waitcnt vmcnt(2)
	v_fma_f64 v[2:3], v[6:7], v[15:16], v[4:5]
	v_fma_f64 v[8:9], v[10:11], v[15:16], v[0:1]
	v_fma_f64 v[4:5], -v[6:7], v[15:16], v[4:5]
	v_fma_f64 v[15:16], v[10:11], v[15:16], -v[0:1]
	v_fma_f64 v[0:1], -v[10:11], v[13:14], v[2:3]
	v_fma_f64 v[2:3], v[6:7], v[13:14], v[8:9]
	v_fma_f64 v[4:5], v[10:11], v[13:14], v[4:5]
	;; [unrolled: 1-line block ×3, first 2 shown]
	ds_write_b128 v116, v[0:3] offset:10560
	ds_write_b128 v12, v[4:7] offset:24000
	ds_read_b128 v[0:3], v116 offset:11520
	ds_read_b128 v[4:7], v12 offset:23040
	global_load_dwordx4 v[8:11], v[25:26], off offset:1152
	s_waitcnt lgkmcnt(0)
	v_add_f64 v[13:14], v[0:1], v[4:5]
	v_add_f64 v[15:16], v[6:7], v[2:3]
	v_add_f64 v[27:28], v[0:1], -v[4:5]
	v_add_f64 v[0:1], v[2:3], -v[6:7]
	s_waitcnt vmcnt(2)
	v_fma_f64 v[2:3], v[27:28], v[23:24], v[13:14]
	v_fma_f64 v[4:5], v[15:16], v[23:24], v[0:1]
	v_fma_f64 v[6:7], -v[27:28], v[23:24], v[13:14]
	v_fma_f64 v[13:14], v[15:16], v[23:24], -v[0:1]
	v_fma_f64 v[0:1], -v[15:16], v[21:22], v[2:3]
	v_fma_f64 v[2:3], v[27:28], v[21:22], v[4:5]
	v_fma_f64 v[4:5], v[15:16], v[21:22], v[6:7]
	v_fma_f64 v[6:7], v[27:28], v[21:22], v[13:14]
	ds_write_b128 v116, v[0:3] offset:11520
	ds_write_b128 v12, v[4:7] offset:23040
	ds_read_b128 v[0:3], v116 offset:12480
	ds_read_b128 v[4:7], v12 offset:22080
	global_load_dwordx4 v[13:16], v[25:26], off offset:2112
	s_waitcnt lgkmcnt(0)
	v_add_f64 v[21:22], v[0:1], v[4:5]
	v_add_f64 v[23:24], v[6:7], v[2:3]
	v_add_f64 v[27:28], v[0:1], -v[4:5]
	v_add_f64 v[0:1], v[2:3], -v[6:7]
	s_waitcnt vmcnt(2)
	v_fma_f64 v[2:3], v[27:28], v[19:20], v[21:22]
	v_fma_f64 v[4:5], v[23:24], v[19:20], v[0:1]
	v_fma_f64 v[6:7], -v[27:28], v[19:20], v[21:22]
	v_fma_f64 v[19:20], v[23:24], v[19:20], -v[0:1]
	v_fma_f64 v[0:1], -v[23:24], v[17:18], v[2:3]
	v_fma_f64 v[2:3], v[27:28], v[17:18], v[4:5]
	v_fma_f64 v[4:5], v[23:24], v[17:18], v[6:7]
	;; [unrolled: 1-line block ×3, first 2 shown]
	v_or_b32_e32 v17, 0x3c0, v112
	v_mov_b32_e32 v18, 0
	v_lshlrev_b64 v[17:18], 4, v[17:18]
	v_mov_b32_e32 v19, s7
	v_add_co_u32_e32 v17, vcc, s6, v17
	ds_write_b128 v116, v[0:3] offset:12480
	ds_write_b128 v12, v[4:7] offset:22080
	v_addc_co_u32_e32 v18, vcc, v19, v18, vcc
	ds_read_b128 v[0:3], v116 offset:13440
	ds_read_b128 v[4:7], v12 offset:21120
	global_load_dwordx4 v[17:20], v[17:18], off
	s_mov_b32 s6, 0x4755a5e
	s_mov_b32 s7, 0xbfe2cf23
	;; [unrolled: 1-line block ×3, first 2 shown]
	s_waitcnt lgkmcnt(0)
	v_add_f64 v[21:22], v[0:1], v[4:5]
	v_add_f64 v[23:24], v[6:7], v[2:3]
	v_add_f64 v[27:28], v[0:1], -v[4:5]
	v_add_f64 v[0:1], v[2:3], -v[6:7]
	v_cmp_gt_u32_e32 vcc, 36, v112
	s_waitcnt vmcnt(2)
	v_fma_f64 v[2:3], v[27:28], v[10:11], v[21:22]
	v_fma_f64 v[4:5], v[23:24], v[10:11], v[0:1]
	v_fma_f64 v[6:7], -v[27:28], v[10:11], v[21:22]
	v_fma_f64 v[10:11], v[23:24], v[10:11], -v[0:1]
	v_fma_f64 v[0:1], -v[23:24], v[8:9], v[2:3]
	v_fma_f64 v[2:3], v[27:28], v[8:9], v[4:5]
	v_fma_f64 v[4:5], v[23:24], v[8:9], v[6:7]
	;; [unrolled: 1-line block ×3, first 2 shown]
	ds_write_b128 v116, v[0:3] offset:13440
	ds_write_b128 v12, v[4:7] offset:21120
	ds_read_b128 v[4:7], v116 offset:14400
	ds_read_b128 v[8:11], v12 offset:20160
	global_load_dwordx4 v[0:3], v[25:26], off offset:4032
	s_waitcnt lgkmcnt(0)
	v_add_f64 v[21:22], v[4:5], v[8:9]
	v_add_f64 v[23:24], v[10:11], v[6:7]
	v_add_f64 v[25:26], v[4:5], -v[8:9]
	v_add_f64 v[4:5], v[6:7], -v[10:11]
	s_waitcnt vmcnt(2)
	v_fma_f64 v[6:7], v[25:26], v[15:16], v[21:22]
	v_fma_f64 v[8:9], v[23:24], v[15:16], v[4:5]
	v_fma_f64 v[10:11], -v[25:26], v[15:16], v[21:22]
	v_fma_f64 v[15:16], v[23:24], v[15:16], -v[4:5]
	v_fma_f64 v[4:5], -v[23:24], v[13:14], v[6:7]
	v_fma_f64 v[6:7], v[25:26], v[13:14], v[8:9]
	v_fma_f64 v[8:9], v[23:24], v[13:14], v[10:11]
	;; [unrolled: 1-line block ×3, first 2 shown]
	ds_write_b128 v116, v[4:7] offset:14400
	ds_write_b128 v12, v[8:11] offset:20160
	ds_read_b128 v[4:7], v116 offset:15360
	ds_read_b128 v[8:11], v12 offset:19200
	s_waitcnt lgkmcnt(0)
	v_add_f64 v[13:14], v[4:5], v[8:9]
	v_add_f64 v[15:16], v[10:11], v[6:7]
	v_add_f64 v[21:22], v[4:5], -v[8:9]
	v_add_f64 v[4:5], v[6:7], -v[10:11]
	s_waitcnt vmcnt(1)
	v_fma_f64 v[6:7], v[21:22], v[19:20], v[13:14]
	v_fma_f64 v[8:9], v[15:16], v[19:20], v[4:5]
	v_fma_f64 v[10:11], -v[21:22], v[19:20], v[13:14]
	v_fma_f64 v[13:14], v[15:16], v[19:20], -v[4:5]
	v_fma_f64 v[4:5], -v[15:16], v[17:18], v[6:7]
	v_fma_f64 v[6:7], v[21:22], v[17:18], v[8:9]
	v_fma_f64 v[8:9], v[15:16], v[17:18], v[10:11]
	v_fma_f64 v[10:11], v[21:22], v[17:18], v[13:14]
	ds_write_b128 v116, v[4:7] offset:15360
	ds_write_b128 v12, v[8:11] offset:19200
	ds_read_b128 v[13:16], v116 offset:16320
	ds_read_b128 v[17:20], v12 offset:18240
	s_waitcnt lgkmcnt(0)
	v_add_f64 v[8:9], v[13:14], v[17:18]
	v_add_f64 v[4:5], v[19:20], v[15:16]
	v_add_f64 v[6:7], v[13:14], -v[17:18]
	v_add_f64 v[10:11], v[15:16], -v[19:20]
	s_waitcnt vmcnt(0)
	v_fma_f64 v[13:14], v[6:7], v[2:3], v[8:9]
	v_fma_f64 v[15:16], v[4:5], v[2:3], v[10:11]
	v_fma_f64 v[17:18], -v[6:7], v[2:3], v[8:9]
	v_fma_f64 v[19:20], v[4:5], v[2:3], -v[10:11]
	v_fma_f64 v[8:9], -v[4:5], v[0:1], v[13:14]
	v_fma_f64 v[10:11], v[6:7], v[0:1], v[15:16]
	v_fma_f64 v[2:3], v[4:5], v[0:1], v[17:18]
	;; [unrolled: 1-line block ×3, first 2 shown]
	ds_write_b128 v116, v[8:11] offset:16320
	ds_write_b128 v12, v[2:5] offset:18240
	s_waitcnt lgkmcnt(0)
	; wave barrier
	s_waitcnt lgkmcnt(0)
	s_waitcnt lgkmcnt(0)
	; wave barrier
	s_waitcnt lgkmcnt(0)
	ds_read_b128 v[0:3], v116 offset:13824
	ds_read_b128 v[4:7], v116 offset:14784
	ds_read_b128 v[8:11], v116 offset:20736
	ds_read_b128 v[12:15], v116 offset:21696
	ds_read_b128 v[16:19], v116
	ds_read_b128 v[20:23], v116 offset:960
	ds_read_b128 v[24:27], v116 offset:6912
	;; [unrolled: 1-line block ×15, first 2 shown]
	s_waitcnt lgkmcnt(14)
	v_add_f64 v[80:81], v[0:1], v[8:9]
	s_waitcnt lgkmcnt(11)
	v_add_f64 v[82:83], v[24:25], v[32:33]
	v_add_f64 v[84:85], v[2:3], v[10:11]
	;; [unrolled: 1-line block ×4, first 2 shown]
	s_waitcnt lgkmcnt(3)
	v_add_f64 v[117:118], v[56:57], v[64:65]
	v_add_f64 v[121:122], v[58:59], v[66:67]
	;; [unrolled: 1-line block ×8, first 2 shown]
	s_waitcnt lgkmcnt(1)
	v_add_f64 v[119:120], v[48:49], v[72:73]
	v_add_f64 v[123:124], v[50:51], v[74:75]
	;; [unrolled: 1-line block ×3, first 2 shown]
	v_add_f64 v[92:93], v[26:27], -v[34:35]
	v_add_f64 v[98:99], v[26:27], -v[2:3]
	;; [unrolled: 1-line block ×11, first 2 shown]
	v_add_f64 v[143:144], v[4:5], v[12:13]
	v_add_f64 v[147:148], v[6:7], v[14:15]
	;; [unrolled: 1-line block ×3, first 2 shown]
	v_add_f64 v[161:162], v[30:31], -v[38:39]
	v_add_f64 v[163:164], v[28:29], -v[4:5]
	;; [unrolled: 1-line block ×7, first 2 shown]
	v_add_f64 v[185:186], v[60:61], v[68:69]
	v_add_f64 v[187:188], v[62:63], -v[70:71]
	v_add_f64 v[189:190], v[52:53], -v[60:61]
	;; [unrolled: 1-line block ×3, first 2 shown]
	v_add_f64 v[193:194], v[62:63], v[70:71]
	v_add_f64 v[195:196], v[60:61], -v[68:69]
	v_add_f64 v[197:198], v[54:55], -v[62:63]
	;; [unrolled: 1-line block ×3, first 2 shown]
	s_waitcnt lgkmcnt(0)
	v_add_f64 v[201:202], v[54:55], -v[78:79]
	v_add_f64 v[54:55], v[54:55], v[78:79]
	v_fma_f64 v[80:81], v[80:81], -0.5, v[16:17]
	v_fma_f64 v[16:17], v[82:83], -0.5, v[16:17]
	;; [unrolled: 1-line block ×4, first 2 shown]
	v_add_f64 v[2:3], v[90:91], v[2:3]
	v_fma_f64 v[84:85], v[117:118], -0.5, v[40:41]
	v_fma_f64 v[86:87], v[121:122], -0.5, v[42:43]
	v_add_f64 v[58:59], v[127:128], v[58:59]
	v_add_f64 v[4:5], v[153:154], v[4:5]
	;; [unrolled: 1-line block ×5, first 2 shown]
	v_add_f64 v[94:95], v[24:25], -v[0:1]
	v_add_f64 v[96:97], v[0:1], -v[24:25]
	;; [unrolled: 1-line block ×5, first 2 shown]
	v_add_f64 v[145:146], v[28:29], v[36:37]
	v_add_f64 v[0:1], v[88:89], v[0:1]
	v_fma_f64 v[40:41], v[119:120], -0.5, v[40:41]
	v_fma_f64 v[42:43], v[123:124], -0.5, v[42:43]
	v_add_f64 v[56:57], v[125:126], v[56:57]
	v_add_f64 v[104:105], v[32:33], -v[8:9]
	v_add_f64 v[106:107], v[8:9], -v[32:33]
	;; [unrolled: 1-line block ×11, first 2 shown]
	v_add_f64 v[203:204], v[52:53], v[76:77]
	v_add_f64 v[52:53], v[52:53], -v[76:77]
	v_add_f64 v[209:210], v[78:79], -v[70:71]
	v_add_f64 v[211:212], v[70:71], -v[78:79]
	v_fma_f64 v[90:91], v[147:148], -0.5, v[22:23]
	v_fma_f64 v[22:23], v[149:150], -0.5, v[22:23]
	;; [unrolled: 1-line block ×5, first 2 shown]
	v_add_f64 v[2:3], v[2:3], v[10:11]
	v_add_f64 v[10:11], v[58:59], v[66:67]
	;; [unrolled: 1-line block ×6, first 2 shown]
	v_fma_f64 v[58:59], v[92:93], s[4:5], v[80:81]
	v_fma_f64 v[60:61], v[92:93], s[10:11], v[80:81]
	v_fma_f64 v[70:71], v[48:49], s[10:11], v[86:87]
	v_fma_f64 v[80:81], v[48:49], s[4:5], v[86:87]
	v_fma_f64 v[86:87], v[129:130], s[4:5], v[84:85]
	v_add_f64 v[157:158], v[74:75], -v[66:67]
	v_add_f64 v[159:160], v[66:67], -v[74:75]
	;; [unrolled: 1-line block ×4, first 2 shown]
	v_fma_f64 v[88:89], v[143:144], -0.5, v[20:21]
	v_fma_f64 v[20:21], v[145:146], -0.5, v[20:21]
	v_add_f64 v[0:1], v[0:1], v[8:9]
	v_add_f64 v[8:9], v[56:57], v[64:65]
	v_fma_f64 v[56:57], v[100:101], s[10:11], v[16:17]
	v_fma_f64 v[62:63], v[102:103], s[4:5], v[18:19]
	;; [unrolled: 1-line block ×8, first 2 shown]
	v_fma_f64 v[44:45], v[203:204], -0.5, v[44:45]
	v_add_f64 v[54:55], v[94:95], v[104:105]
	v_add_f64 v[94:95], v[98:99], v[108:109]
	;; [unrolled: 1-line block ×5, first 2 shown]
	v_fma_f64 v[40:41], v[137:138], s[4:5], v[40:41]
	v_fma_f64 v[84:85], v[129:130], s[10:11], v[84:85]
	;; [unrolled: 1-line block ×10, first 2 shown]
	v_add_f64 v[2:3], v[2:3], v[34:35]
	v_add_f64 v[10:11], v[10:11], v[74:75]
	;; [unrolled: 1-line block ×3, first 2 shown]
	v_fma_f64 v[76:77], v[137:138], s[6:7], v[86:87]
	v_add_f64 v[104:105], v[135:136], v[157:158]
	v_add_f64 v[26:27], v[26:27], v[110:111]
	;; [unrolled: 1-line block ×3, first 2 shown]
	v_fma_f64 v[16:17], v[100:101], s[4:5], v[16:17]
	v_fma_f64 v[133:134], v[169:170], s[10:11], v[20:21]
	;; [unrolled: 1-line block ×3, first 2 shown]
	v_add_f64 v[0:1], v[0:1], v[32:33]
	v_add_f64 v[8:9], v[8:9], v[72:73]
	;; [unrolled: 1-line block ×5, first 2 shown]
	v_fma_f64 v[56:57], v[92:93], s[6:7], v[56:57]
	v_fma_f64 v[62:63], v[24:25], s[12:13], v[62:63]
	;; [unrolled: 1-line block ×7, first 2 shown]
	v_add_f64 v[108:109], v[189:190], v[205:206]
	v_add_f64 v[110:111], v[197:198], v[209:210]
	;; [unrolled: 1-line block ×4, first 2 shown]
	v_fma_f64 v[135:136], v[161:162], s[4:5], v[88:89]
	v_fma_f64 v[88:89], v[161:162], s[10:11], v[88:89]
	;; [unrolled: 1-line block ×15, first 2 shown]
	v_add_f64 v[34:35], v[2:3], v[10:11]
	v_add_f64 v[18:19], v[2:3], -v[10:11]
	v_fma_f64 v[10:11], v[98:99], s[14:15], v[76:77]
	v_add_f64 v[125:126], v[165:166], v[175:176]
	v_fma_f64 v[20:21], v[169:170], s[4:5], v[20:21]
	v_fma_f64 v[117:118], v[201:202], s[10:11], v[117:118]
	;; [unrolled: 1-line block ×7, first 2 shown]
	v_add_f64 v[32:33], v[0:1], v[8:9]
	v_add_f64 v[16:17], v[0:1], -v[8:9]
	v_add_f64 v[4:5], v[36:37], v[12:13]
	v_add_f64 v[6:7], v[38:39], v[14:15]
	v_add_f64 v[0:1], v[36:37], -v[12:13]
	v_add_f64 v[2:3], v[38:39], -v[14:15]
	v_fma_f64 v[8:9], v[104:105], s[14:15], v[70:71]
	v_fma_f64 v[36:37], v[50:51], s[14:15], v[68:69]
	;; [unrolled: 1-line block ×7, first 2 shown]
	v_add_f64 v[123:124], v[167:168], v[177:178]
	v_add_f64 v[127:128], v[191:192], v[207:208]
	v_fma_f64 v[52:53], v[201:202], s[6:7], v[149:150]
	v_fma_f64 v[44:45], v[201:202], s[12:13], v[44:45]
	;; [unrolled: 1-line block ×12, first 2 shown]
	v_mul_f64 v[76:77], v[10:11], s[12:13]
	v_fma_f64 v[20:21], v[161:162], s[12:13], v[20:21]
	v_fma_f64 v[100:101], v[187:188], s[12:13], v[117:118]
	;; [unrolled: 1-line block ×9, first 2 shown]
	v_mul_f64 v[70:71], v[8:9], s[6:7]
	v_mul_f64 v[78:79], v[36:37], s[4:5]
	;; [unrolled: 1-line block ×4, first 2 shown]
	v_add_f64 v[121:122], v[163:164], v[173:174]
	v_fma_f64 v[66:67], v[102:103], s[6:7], v[66:67]
	v_fma_f64 v[92:93], v[169:170], s[6:7], v[135:136]
	;; [unrolled: 1-line block ×5, first 2 shown]
	v_mul_f64 v[26:27], v[26:27], s[18:19]
	v_mul_f64 v[82:83], v[42:43], s[6:7]
	;; [unrolled: 1-line block ×9, first 2 shown]
	v_fma_f64 v[8:9], v[8:9], s[16:17], v[76:77]
	v_fma_f64 v[20:21], v[125:126], s[14:15], v[20:21]
	;; [unrolled: 1-line block ×3, first 2 shown]
	v_mul_f64 v[125:126], v[46:47], s[6:7]
	v_mul_f64 v[127:128], v[46:47], s[20:21]
	v_fma_f64 v[10:11], v[10:11], s[16:17], v[70:71]
	v_fma_f64 v[46:47], v[38:39], s[14:15], v[78:79]
	;; [unrolled: 1-line block ×14, first 2 shown]
	v_add_f64 v[110:111], v[14:15], v[8:9]
	v_add_f64 v[94:95], v[14:15], -v[8:9]
	v_fma_f64 v[8:9], v[44:45], s[10:11], v[30:31]
	v_add_f64 v[108:109], v[12:13], v[10:11]
	v_add_f64 v[92:93], v[12:13], -v[10:11]
	v_add_f64 v[104:105], v[48:49], v[46:47]
	v_add_f64 v[106:107], v[56:57], v[36:37]
	v_add_f64 v[88:89], v[48:49], -v[46:47]
	v_add_f64 v[90:91], v[56:57], -v[36:37]
	v_add_f64 v[100:101], v[58:59], v[38:39]
	v_add_f64 v[84:85], v[58:59], -v[38:39]
	v_fma_f64 v[10:11], v[121:122], s[14:15], v[119:120]
	v_fma_f64 v[56:57], v[117:118], s[20:21], v[125:126]
	ds_read_b128 v[44:47], v116 offset:8832
	v_fma_f64 v[58:59], v[117:118], s[12:13], v[127:128]
	ds_read_b128 v[117:120], v116 offset:1920
	v_add_f64 v[96:97], v[50:51], v[40:41]
	v_add_f64 v[98:99], v[54:55], v[42:43]
	v_add_f64 v[80:81], v[50:51], -v[40:41]
	v_add_f64 v[82:83], v[54:55], -v[42:43]
	v_add_f64 v[76:77], v[66:67], v[60:61]
	v_add_f64 v[78:79], v[68:69], v[62:63]
	v_add_f64 v[40:41], v[66:67], -v[60:61]
	v_add_f64 v[42:43], v[68:69], -v[62:63]
	;; [unrolled: 4-line block ×3, first 2 shown]
	v_add_f64 v[72:73], v[20:21], v[52:53]
	v_fma_f64 v[54:55], v[123:124], s[14:15], v[129:130]
	v_add_f64 v[74:75], v[22:23], v[8:9]
	v_add_f64 v[64:65], v[20:21], -v[52:53]
	v_add_f64 v[66:67], v[22:23], -v[8:9]
	s_waitcnt lgkmcnt(0)
	v_add_f64 v[8:9], v[117:118], v[44:45]
	v_add_f64 v[52:53], v[119:120], v[46:47]
	;; [unrolled: 1-line block ×3, first 2 shown]
	v_add_f64 v[86:87], v[24:25], -v[26:27]
	ds_read_b128 v[24:27], v116 offset:2880
	ds_read_b128 v[28:31], v116 offset:9792
	;; [unrolled: 1-line block ×4, first 2 shown]
	v_add_f64 v[123:124], v[54:55], v[58:59]
	v_add_f64 v[127:128], v[54:55], -v[58:59]
	ds_read_b128 v[60:63], v116 offset:29568
	s_waitcnt lgkmcnt(2)
	v_add_f64 v[54:55], v[8:9], v[12:13]
	v_add_f64 v[52:53], v[52:53], v[14:15]
	;; [unrolled: 1-line block ×3, first 2 shown]
	v_add_f64 v[125:126], v[10:11], -v[56:57]
	ds_read_b128 v[20:23], v116 offset:16704
	ds_read_b128 v[8:11], v116 offset:23616
	s_waitcnt lgkmcnt(3)
	v_add_f64 v[145:146], v[12:13], v[48:49]
	v_add_f64 v[147:148], v[14:15], -v[50:51]
	v_add_f64 v[149:150], v[44:45], -v[12:13]
	;; [unrolled: 1-line block ×3, first 2 shown]
	v_add_f64 v[153:154], v[14:15], v[50:51]
	v_add_f64 v[155:156], v[12:13], -v[48:49]
	v_add_f64 v[157:158], v[46:47], -v[14:15]
	;; [unrolled: 1-line block ×3, first 2 shown]
	ds_read_b128 v[12:15], v116 offset:30528
	ds_read_b128 v[129:132], v116 offset:12288
	;; [unrolled: 1-line block ×3, first 2 shown]
	s_waitcnt lgkmcnt(5)
	v_add_f64 v[161:162], v[46:47], -v[62:63]
	v_add_f64 v[163:164], v[44:45], v[60:61]
	v_add_f64 v[165:166], v[44:45], -v[60:61]
	v_add_f64 v[167:168], v[46:47], v[62:63]
	v_add_f64 v[44:45], v[54:55], v[48:49]
	;; [unrolled: 1-line block ×3, first 2 shown]
	s_waitcnt lgkmcnt(0)
	v_add_f64 v[141:142], v[133:134], v[129:130]
	v_add_f64 v[143:144], v[135:136], v[131:132]
	v_add_f64 v[169:170], v[60:61], -v[48:49]
	v_add_f64 v[171:172], v[48:49], -v[60:61]
	v_add_f64 v[173:174], v[62:63], -v[50:51]
	ds_read_b128 v[52:55], v116 offset:6336
	ds_read_b128 v[56:59], v116 offset:13248
	v_add_f64 v[175:176], v[50:51], -v[62:63]
	ds_read_b128 v[48:51], v116 offset:19200
	v_add_f64 v[177:178], v[44:45], v[60:61]
	v_add_f64 v[179:180], v[46:47], v[62:63]
	ds_read_b128 v[137:140], v116 offset:26112
	ds_read_b128 v[60:63], v116 offset:20160
	v_fma_f64 v[145:146], v[145:146], -0.5, v[117:118]
	s_waitcnt lgkmcnt(2)
	v_add_f64 v[181:182], v[141:142], v[48:49]
	v_add_f64 v[183:184], v[143:144], v[50:51]
	s_waitcnt lgkmcnt(1)
	v_add_f64 v[185:186], v[48:49], v[137:138]
	v_add_f64 v[193:194], v[50:51], v[139:140]
	ds_read_b128 v[141:144], v116 offset:33024
	v_add_f64 v[187:188], v[50:51], -v[139:140]
	v_add_f64 v[189:190], v[129:130], -v[48:49]
	;; [unrolled: 1-line block ×6, first 2 shown]
	ds_read_b128 v[48:51], v116 offset:33984
	s_waitcnt lgkmcnt(1)
	v_add_f64 v[201:202], v[131:132], -v[143:144]
	v_add_f64 v[203:204], v[129:130], -v[141:142]
	v_fma_f64 v[193:194], v[193:194], -0.5, v[135:136]
	v_add_f64 v[131:132], v[131:132], v[143:144]
	v_add_f64 v[181:182], v[181:182], v[137:138]
	;; [unrolled: 1-line block ×3, first 2 shown]
	v_fma_f64 v[185:186], v[185:186], -0.5, v[133:134]
	v_add_f64 v[207:208], v[143:144], -v[139:140]
	v_add_f64 v[129:130], v[129:130], v[141:142]
	v_add_f64 v[205:206], v[141:142], -v[137:138]
	v_fma_f64 v[209:210], v[203:204], s[10:11], v[193:194]
	v_add_f64 v[137:138], v[137:138], -v[141:142]
	v_add_f64 v[139:140], v[139:140], -v[143:144]
	v_add_f64 v[141:142], v[181:182], v[141:142]
	v_add_f64 v[143:144], v[183:184], v[143:144]
	v_fma_f64 v[181:182], v[201:202], s[4:5], v[185:186]
	v_add_f64 v[183:184], v[197:198], v[207:208]
	v_fma_f64 v[207:208], v[131:132], -0.5, v[135:136]
	v_fma_f64 v[197:198], v[195:196], s[12:13], v[209:210]
	v_add_f64 v[189:190], v[189:190], v[205:206]
	v_fma_f64 v[163:164], v[163:164], -0.5, v[117:118]
	v_fma_f64 v[153:154], v[153:154], -0.5, v[119:120]
	v_add_f64 v[117:118], v[177:178], v[141:142]
	v_fma_f64 v[131:132], v[187:188], s[6:7], v[181:182]
	v_fma_f64 v[181:182], v[129:130], -0.5, v[133:134]
	v_fma_f64 v[135:136], v[195:196], s[4:5], v[207:208]
	v_fma_f64 v[133:134], v[183:184], s[14:15], v[197:198]
	v_add_f64 v[129:130], v[177:178], -v[141:142]
	v_fma_f64 v[141:142], v[161:162], s[4:5], v[145:146]
	v_add_f64 v[197:198], v[199:200], v[139:140]
	v_add_f64 v[149:150], v[149:150], v[169:170]
	v_fma_f64 v[131:132], v[189:190], s[14:15], v[131:132]
	v_fma_f64 v[139:140], v[187:188], s[10:11], v[181:182]
	;; [unrolled: 1-line block ×3, first 2 shown]
	v_mul_f64 v[169:170], v[133:134], s[6:7]
	v_fma_f64 v[177:178], v[165:166], s[10:11], v[153:154]
	v_fma_f64 v[141:142], v[147:148], s[6:7], v[141:142]
	v_add_f64 v[157:158], v[157:158], v[173:174]
	v_add_f64 v[173:174], v[191:192], v[137:138]
	v_mul_f64 v[199:200], v[131:132], s[12:13]
	v_fma_f64 v[137:138], v[201:202], s[6:7], v[139:140]
	v_fma_f64 v[135:136], v[197:198], s[14:15], v[135:136]
	;; [unrolled: 1-line block ×5, first 2 shown]
	v_add_f64 v[151:152], v[151:152], v[171:172]
	v_add_f64 v[159:160], v[159:160], v[175:176]
	v_fma_f64 v[139:140], v[133:134], s[16:17], v[199:200]
	v_fma_f64 v[133:134], v[147:148], s[10:11], v[163:164]
	;; [unrolled: 1-line block ×3, first 2 shown]
	v_mul_f64 v[171:172], v[135:136], s[4:5]
	v_mul_f64 v[175:176], v[135:136], s[14:15]
	v_fma_f64 v[167:168], v[167:168], -0.5, v[119:120]
	v_add_f64 v[119:120], v[179:180], v[143:144]
	v_fma_f64 v[191:192], v[157:158], s[14:15], v[131:132]
	v_add_f64 v[131:132], v[179:180], -v[143:144]
	v_fma_f64 v[199:200], v[161:162], s[6:7], v[133:134]
	v_add_f64 v[133:134], v[141:142], v[169:170]
	v_fma_f64 v[171:172], v[137:138], s[14:15], v[171:172]
	v_fma_f64 v[143:144], v[195:196], s[10:11], v[207:208]
	;; [unrolled: 1-line block ×3, first 2 shown]
	v_add_f64 v[137:138], v[141:142], -v[169:170]
	v_fma_f64 v[169:170], v[203:204], s[4:5], v[193:194]
	v_add_f64 v[135:136], v[191:192], v[139:140]
	v_add_f64 v[139:140], v[191:192], -v[139:140]
	v_fma_f64 v[181:182], v[187:188], s[4:5], v[181:182]
	v_fma_f64 v[163:164], v[147:148], s[4:5], v[163:164]
	;; [unrolled: 1-line block ×18, first 2 shown]
	v_mul_f64 v[173:174], v[191:192], s[4:5]
	v_mul_f64 v[181:182], v[191:192], s[18:19]
	v_fma_f64 v[147:148], v[155:156], s[6:7], v[153:154]
	v_fma_f64 v[153:154], v[189:190], s[14:15], v[161:162]
	v_mul_f64 v[155:156], v[169:170], s[6:7]
	v_mul_f64 v[161:162], v[169:170], s[20:21]
	v_fma_f64 v[179:180], v[151:152], s[14:15], v[199:200]
	v_fma_f64 v[177:178], v[159:160], s[14:15], v[177:178]
	v_fma_f64 v[163:164], v[151:152], s[14:15], v[163:164]
	v_fma_f64 v[159:160], v[159:160], s[14:15], v[165:166]
	v_fma_f64 v[165:166], v[167:168], s[18:19], v[173:174]
	v_fma_f64 v[167:168], v[167:168], s[10:11], v[181:182]
	v_fma_f64 v[169:170], v[149:150], s[14:15], v[145:146]
	v_fma_f64 v[173:174], v[157:158], s[14:15], v[147:148]
	v_fma_f64 v[181:182], v[153:154], s[20:21], v[155:156]
	v_fma_f64 v[183:184], v[153:154], s[12:13], v[161:162]
	ds_read_b128 v[44:47], v116 offset:27072
	v_add_f64 v[141:142], v[179:180], v[171:172]
	v_add_f64 v[143:144], v[177:178], v[175:176]
	v_add_f64 v[145:146], v[179:180], -v[171:172]
	v_add_f64 v[147:148], v[177:178], -v[175:176]
	v_add_f64 v[149:150], v[163:164], v[165:166]
	v_add_f64 v[151:152], v[159:160], v[167:168]
	v_add_f64 v[153:154], v[163:164], -v[165:166]
	v_add_f64 v[155:156], v[159:160], -v[167:168]
	;; [unrolled: 4-line block ×3, first 2 shown]
	s_waitcnt lgkmcnt(0)
	; wave barrier
	s_waitcnt lgkmcnt(0)
	ds_write_b128 v113, v[32:35]
	ds_write_b128 v113, v[108:111] offset:16
	ds_write_b128 v113, v[104:107] offset:32
	;; [unrolled: 1-line block ×29, first 2 shown]
	s_and_saveexec_b64 s[22:23], vcc
	s_cbranch_execz .LBB0_19
; %bb.18:
	v_add_f64 v[34:35], v[62:63], v[46:47]
	v_add_f64 v[42:43], v[58:59], v[50:51]
	;; [unrolled: 1-line block ×3, first 2 shown]
	v_add_f64 v[40:41], v[56:57], -v[48:49]
	v_add_f64 v[66:67], v[56:57], v[48:49]
	v_add_f64 v[70:71], v[60:61], -v[44:45]
	v_add_f64 v[16:17], v[28:29], -v[12:13]
	;; [unrolled: 1-line block ×3, first 2 shown]
	v_fma_f64 v[34:35], v[34:35], -0.5, v[54:55]
	v_fma_f64 v[42:43], v[42:43], -0.5, v[54:55]
	v_add_f64 v[18:19], v[48:49], -v[44:45]
	v_fma_f64 v[0:1], v[0:1], -0.5, v[26:27]
	v_add_f64 v[68:69], v[58:59], -v[62:63]
	v_add_f64 v[72:73], v[50:51], -v[46:47]
	v_add_f64 v[76:77], v[30:31], v[14:15]
	v_add_f64 v[78:79], v[62:63], -v[46:47]
	v_fma_f64 v[74:75], v[40:41], s[4:5], v[34:35]
	v_fma_f64 v[66:67], v[66:67], -0.5, v[52:53]
	v_add_f64 v[80:81], v[62:63], -v[58:59]
	v_add_f64 v[82:83], v[46:47], -v[50:51]
	v_fma_f64 v[84:85], v[70:71], s[10:11], v[42:43]
	v_add_f64 v[4:5], v[30:31], -v[22:23]
	v_add_f64 v[32:33], v[58:59], -v[50:51]
	;; [unrolled: 1-line block ×4, first 2 shown]
	v_add_f64 v[18:19], v[6:7], v[18:19]
	v_fma_f64 v[6:7], v[16:17], s[4:5], v[0:1]
	v_add_f64 v[68:69], v[68:69], v[72:73]
	v_fma_f64 v[72:73], v[70:71], s[6:7], v[74:75]
	v_fma_f64 v[74:75], v[76:77], -0.5, v[26:27]
	v_add_f64 v[76:77], v[60:61], -v[56:57]
	v_add_f64 v[86:87], v[44:45], -v[48:49]
	v_fma_f64 v[88:89], v[78:79], s[4:5], v[66:67]
	v_add_f64 v[80:81], v[80:81], v[82:83]
	v_fma_f64 v[82:83], v[40:41], s[6:7], v[84:85]
	v_add_f64 v[2:3], v[60:61], v[44:45]
	v_add_f64 v[84:85], v[22:23], -v[30:31]
	v_add_f64 v[90:91], v[10:11], -v[14:15]
	v_fma_f64 v[92:93], v[38:39], s[10:11], v[74:75]
	v_add_f64 v[76:77], v[76:77], v[86:87]
	v_fma_f64 v[86:87], v[32:33], s[12:13], v[88:89]
	v_add_f64 v[4:5], v[4:5], v[36:37]
	v_fma_f64 v[82:83], v[80:81], s[14:15], v[82:83]
	v_fma_f64 v[6:7], v[38:39], s[6:7], v[6:7]
	v_fma_f64 v[2:3], v[2:3], -0.5, v[52:53]
	v_add_f64 v[84:85], v[84:85], v[90:91]
	v_fma_f64 v[88:89], v[16:17], s[6:7], v[92:93]
	v_fma_f64 v[66:67], v[78:79], s[10:11], v[66:67]
	;; [unrolled: 1-line block ×4, first 2 shown]
	v_mul_f64 v[90:91], v[82:83], s[18:19]
	v_fma_f64 v[92:93], v[4:5], s[14:15], v[6:7]
	v_fma_f64 v[6:7], v[70:71], s[4:5], v[42:43]
	;; [unrolled: 1-line block ×5, first 2 shown]
	v_add_f64 v[26:27], v[26:27], v[30:31]
	v_fma_f64 v[0:1], v[16:17], s[10:11], v[0:1]
	v_fma_f64 v[88:89], v[86:87], s[10:11], v[90:91]
	;; [unrolled: 1-line block ×6, first 2 shown]
	v_add_f64 v[40:41], v[54:55], v[58:59]
	v_fma_f64 v[58:59], v[16:17], s[12:13], v[74:75]
	v_add_f64 v[26:27], v[26:27], v[22:23]
	v_fma_f64 v[0:1], v[38:39], s[12:13], v[0:1]
	v_fma_f64 v[66:67], v[78:79], s[6:7], v[90:91]
	;; [unrolled: 1-line block ×5, first 2 shown]
	v_add_f64 v[38:39], v[20:21], v[8:9]
	v_add_f64 v[22:23], v[22:23], -v[10:11]
	v_fma_f64 v[72:73], v[68:69], s[14:15], v[72:73]
	v_add_f64 v[74:75], v[8:9], -v[12:13]
	v_fma_f64 v[32:33], v[18:19], s[14:15], v[66:67]
	v_fma_f64 v[18:19], v[70:71], s[12:13], v[34:35]
	v_add_f64 v[34:35], v[40:41], v[62:63]
	v_mul_f64 v[40:41], v[54:55], s[14:15]
	v_add_f64 v[70:71], v[20:21], -v[28:29]
	v_fma_f64 v[58:59], v[84:85], s[14:15], v[58:59]
	v_mul_f64 v[64:65], v[72:73], s[20:21]
	v_add_u32_e32 v96, 0x2580, v113
	v_mul_f64 v[62:63], v[32:33], s[12:13]
	v_fma_f64 v[66:67], v[68:69], s[14:15], v[18:19]
	v_add_f64 v[18:19], v[26:27], v[10:11]
	v_add_f64 v[26:27], v[34:35], v[46:47]
	v_fma_f64 v[34:35], v[16:17], s[10:11], v[40:41]
	v_add_f64 v[40:41], v[28:29], v[12:13]
	v_fma_f64 v[46:47], v[4:5], s[14:15], v[0:1]
	v_fma_f64 v[0:1], v[38:39], -0.5, v[24:25]
	v_add_f64 v[4:5], v[30:31], -v[14:15]
	v_add_f64 v[30:31], v[28:29], -v[20:21]
	v_fma_f64 v[38:39], v[66:67], s[16:17], v[62:63]
	v_add_f64 v[50:51], v[26:27], v[50:51]
	v_add_f64 v[62:63], v[18:19], v[14:15]
	v_fma_f64 v[26:27], v[40:41], -0.5, v[24:25]
	v_add_f64 v[24:25], v[24:25], v[28:29]
	v_add_f64 v[28:29], v[52:53], v[56:57]
	v_add_f64 v[40:41], v[12:13], -v[8:9]
	v_fma_f64 v[68:69], v[4:5], s[10:11], v[0:1]
	v_fma_f64 v[0:1], v[4:5], s[4:5], v[0:1]
	v_add_f64 v[56:57], v[70:71], v[74:75]
	v_mul_f64 v[70:71], v[82:83], s[4:5]
	v_fma_f64 v[76:77], v[22:23], s[4:5], v[26:27]
	v_add_f64 v[20:21], v[24:25], v[20:21]
	v_add_f64 v[24:25], v[28:29], v[60:61]
	v_fma_f64 v[26:27], v[22:23], s[10:11], v[26:27]
	v_add_f64 v[30:31], v[30:31], v[40:41]
	v_fma_f64 v[40:41], v[22:23], s[12:13], v[68:69]
	v_fma_f64 v[22:23], v[22:23], s[6:7], v[0:1]
	v_mul_f64 v[28:29], v[54:55], s[4:5]
	v_fma_f64 v[68:69], v[4:5], s[12:13], v[76:77]
	v_add_f64 v[8:9], v[20:21], v[8:9]
	v_add_f64 v[20:21], v[24:25], v[44:45]
	v_mul_f64 v[24:25], v[66:67], s[6:7]
	v_fma_f64 v[26:27], v[4:5], s[6:7], v[26:27]
	v_mul_f64 v[52:53], v[72:73], s[6:7]
	v_fma_f64 v[54:55], v[30:31], s[14:15], v[22:23]
	v_fma_f64 v[64:65], v[36:37], s[12:13], v[64:65]
	;; [unrolled: 1-line block ×3, first 2 shown]
	v_add_f64 v[8:9], v[8:9], v[12:13]
	v_add_f64 v[12:13], v[20:21], v[48:49]
	v_fma_f64 v[48:49], v[32:33], s[16:17], v[24:25]
	v_fma_f64 v[44:45], v[56:57], s[14:15], v[26:27]
	;; [unrolled: 1-line block ×6, first 2 shown]
	v_add_f64 v[10:11], v[58:59], -v[34:35]
	v_add_f64 v[14:15], v[46:47], -v[38:39]
	v_add_f64 v[30:31], v[58:59], v[34:35]
	v_add_f64 v[34:35], v[46:47], v[38:39]
	;; [unrolled: 1-line block ×10, first 2 shown]
	v_add_f64 v[18:19], v[62:63], -v[50:51]
	v_add_f64 v[16:17], v[8:9], -v[12:13]
	;; [unrolled: 1-line block ×8, first 2 shown]
	ds_write_b128 v96, v[36:39] offset:19200
	ds_write_b128 v96, v[32:35] offset:19216
	;; [unrolled: 1-line block ×10, first 2 shown]
.LBB0_19:
	s_or_b64 exec, exec, s[22:23]
	s_movk_i32 s4, 0xcd
	v_mul_lo_u16_sdwa v0, v112, s4 dst_sel:DWORD dst_unused:UNUSED_PAD src0_sel:BYTE_0 src1_sel:DWORD
	v_lshrrev_b16_e32 v255, 11, v0
	v_mul_lo_u16_e32 v0, 10, v255
	v_sub_u16_e32 v115, v112, v0
	v_mov_b32_e32 v88, 5
	v_mul_u32_u24_sdwa v0, v115, v88 dst_sel:DWORD dst_unused:UNUSED_PAD src0_sel:BYTE_0 src1_sel:DWORD
	v_lshlrev_b32_e32 v0, 4, v0
	s_waitcnt lgkmcnt(0)
	; wave barrier
	s_waitcnt lgkmcnt(0)
	global_load_dwordx4 v[20:23], v0, s[8:9]
	global_load_dwordx4 v[24:27], v0, s[8:9] offset:16
	global_load_dwordx4 v[28:31], v0, s[8:9] offset:32
	;; [unrolled: 1-line block ×4, first 2 shown]
	v_add_u32_e32 v1, 60, v112
	v_mul_lo_u16_sdwa v0, v1, s4 dst_sel:DWORD dst_unused:UNUSED_PAD src0_sel:BYTE_0 src1_sel:DWORD
	v_lshrrev_b16_e32 v95, 11, v0
	v_mul_lo_u16_e32 v0, 10, v95
	v_sub_u16_e32 v96, v1, v0
	v_mul_u32_u24_sdwa v0, v96, v88 dst_sel:DWORD dst_unused:UNUSED_PAD src0_sel:BYTE_0 src1_sel:DWORD
	v_lshlrev_b32_e32 v89, 4, v0
	global_load_dwordx4 v[40:43], v89, s[8:9]
	ds_read_b128 v[16:19], v116 offset:960
	ds_read_b128 v[12:15], v116 offset:1920
	;; [unrolled: 1-line block ×12, first 2 shown]
	global_load_dwordx4 v[84:87], v89, s[8:9] offset:32
	global_load_dwordx4 v[105:108], v89, s[8:9] offset:16
	v_add_u16_e32 v92, 0x78, v112
	v_mul_lo_u16_sdwa v91, v92, s4 dst_sel:DWORD dst_unused:UNUSED_PAD src0_sel:BYTE_0 src1_sel:DWORD
	v_lshrrev_b16_e32 v97, 11, v91
	v_mul_lo_u16_e32 v91, 10, v97
	v_sub_u16_e32 v98, v92, v91
	v_mul_u32_u24_sdwa v91, v98, v88 dst_sel:DWORD dst_unused:UNUSED_PAD src0_sel:BYTE_0 src1_sel:DWORD
	ds_read_b128 v[8:11], v116 offset:2880
	ds_read_b128 v[4:7], v116 offset:3840
	;; [unrolled: 1-line block ×14, first 2 shown]
	global_load_dwordx4 v[157:160], v89, s[8:9] offset:48
	global_load_dwordx4 v[161:164], v89, s[8:9] offset:64
	v_lshlrev_b32_e32 v89, 4, v91
	global_load_dwordx4 v[165:168], v89, s[8:9] offset:16
	global_load_dwordx4 v[169:172], v89, s[8:9]
	v_add_u16_e32 v91, 0xb4, v112
	v_mul_lo_u16_sdwa v93, v91, s4 dst_sel:DWORD dst_unused:UNUSED_PAD src0_sel:BYTE_0 src1_sel:DWORD
	v_lshrrev_b16_e32 v99, 11, v93
	v_mul_lo_u16_e32 v93, 10, v99
	v_sub_u16_e32 v100, v91, v93
	v_mul_u32_u24_sdwa v88, v100, v88 dst_sel:DWORD dst_unused:UNUSED_PAD src0_sel:BYTE_0 src1_sel:DWORD
	ds_read_b128 v[173:176], v116 offset:23040
	ds_read_b128 v[177:180], v116 offset:22080
	;; [unrolled: 1-line block ×4, first 2 shown]
	v_lshlrev_b32_e32 v88, 4, v88
	global_load_dwordx4 v[189:192], v89, s[8:9] offset:48
	global_load_dwordx4 v[193:196], v89, s[8:9] offset:32
	;; [unrolled: 1-line block ×5, first 2 shown]
	global_load_dwordx4 v[209:212], v88, s[8:9]
	v_add_u32_e32 v90, 0xf0, v112
	s_mov_b32 s4, 0xcccd
	v_add_u32_e32 v111, 0x12c, v112
	s_mov_b32 s6, 0xe8584caa
	s_mov_b32 s7, 0xbfebb67a
	;; [unrolled: 1-line block ×3, first 2 shown]
	s_movk_i32 s10, 0x89
	s_waitcnt vmcnt(17) lgkmcnt(9)
	v_mul_f64 v[109:110], v[103:104], v[22:23]
	v_mul_f64 v[22:23], v[101:102], v[22:23]
	s_waitcnt vmcnt(16) lgkmcnt(7)
	v_mul_f64 v[213:214], v[143:144], v[26:27]
	v_mul_f64 v[26:27], v[141:142], v[26:27]
	;; [unrolled: 3-line block ×4, first 2 shown]
	v_fma_f64 v[221:222], v[101:102], v[20:21], v[109:110]
	v_fma_f64 v[223:224], v[103:104], v[20:21], -v[22:23]
	v_fma_f64 v[225:226], v[141:142], v[24:25], v[213:214]
	v_fma_f64 v[227:228], v[143:144], v[24:25], -v[26:27]
	global_load_dwordx4 v[20:23], v88, s[8:9] offset:48
	global_load_dwordx4 v[24:27], v88, s[8:9] offset:64
	v_fma_f64 v[229:230], v[149:150], v[28:29], v[215:216]
	v_fma_f64 v[231:232], v[151:152], v[28:29], -v[30:31]
	v_mul_u32_u24_sdwa v28, v90, s4 dst_sel:DWORD dst_unused:UNUSED_PAD src0_sel:WORD_0 src1_sel:DWORD
	v_lshrrev_b32_e32 v101, 19, v28
	v_mul_lo_u16_e32 v28, 10, v101
	v_sub_u16_e32 v102, v90, v28
	v_mul_u32_u24_e32 v28, 5, v102
	s_waitcnt vmcnt(15) lgkmcnt(1)
	v_mul_f64 v[219:220], v[183:184], v[38:39]
	v_mul_f64 v[38:39], v[181:182], v[38:39]
	v_lshlrev_b32_e32 v88, 4, v28
	global_load_dwordx4 v[28:31], v88, s[8:9] offset:16
	global_load_dwordx4 v[141:144], v88, s[8:9]
	s_waitcnt vmcnt(16)
	v_mul_f64 v[103:104], v[46:47], v[42:43]
	v_mul_f64 v[42:43], v[44:45], v[42:43]
	v_fma_f64 v[233:234], v[173:174], v[32:33], v[217:218]
	v_fma_f64 v[235:236], v[175:176], v[32:33], -v[34:35]
	v_fma_f64 v[237:238], v[181:182], v[36:37], v[219:220]
	v_fma_f64 v[239:240], v[183:184], v[36:37], -v[38:39]
	global_load_dwordx4 v[32:35], v88, s[8:9] offset:48
	global_load_dwordx4 v[36:39], v88, s[8:9] offset:32
	s_waitcnt vmcnt(16)
	v_mul_f64 v[213:214], v[54:55], v[107:108]
	v_fma_f64 v[241:242], v[44:45], v[40:41], v[103:104]
	v_fma_f64 v[243:244], v[46:47], v[40:41], -v[42:43]
	v_mul_u32_u24_sdwa v40, v111, s4 dst_sel:DWORD dst_unused:UNUSED_PAD src0_sel:WORD_0 src1_sel:DWORD
	v_lshrrev_b32_e32 v103, 19, v40
	v_mul_lo_u16_e32 v40, 10, v103
	v_sub_u16_e32 v104, v111, v40
	v_mul_u32_u24_e32 v44, 5, v104
	global_load_dwordx4 v[40:43], v88, s[8:9] offset:64
	v_lshlrev_b32_e32 v88, 4, v44
	v_mul_f64 v[215:216], v[52:53], v[107:108]
	global_load_dwordx4 v[44:47], v88, s[8:9]
	global_load_dwordx4 v[107:110], v88, s[8:9] offset:32
	global_load_dwordx4 v[149:152], v88, s[8:9] offset:16
	v_mul_f64 v[217:218], v[62:63], v[86:87]
	ds_read_b128 v[173:176], v116 offset:25920
	ds_read_b128 v[181:184], v116 offset:26880
	v_fma_f64 v[245:246], v[52:53], v[105:106], v[213:214]
	v_mul_f64 v[86:87], v[60:61], v[86:87]
	s_waitcnt vmcnt(19)
	v_mul_f64 v[52:53], v[70:71], v[159:160]
	v_fma_f64 v[105:106], v[54:55], v[105:106], -v[215:216]
	global_load_dwordx4 v[213:216], v88, s[8:9] offset:48
	v_mul_f64 v[54:55], v[68:69], v[159:160]
	v_fma_f64 v[247:248], v[60:61], v[84:85], v[217:218]
	global_load_dwordx4 v[217:220], v88, s[8:9] offset:64
	s_waitcnt vmcnt(18)
	v_mul_f64 v[159:160], v[50:51], v[171:172]
	v_fma_f64 v[249:250], v[62:63], v[84:85], -v[86:87]
	v_mul_f64 v[84:85], v[78:79], v[163:164]
	v_mul_f64 v[86:87], v[76:77], v[163:164]
	;; [unrolled: 1-line block ×3, first 2 shown]
	v_fma_f64 v[171:172], v[68:69], v[157:158], v[52:53]
	v_fma_f64 v[251:252], v[70:71], v[157:158], -v[54:55]
	s_waitcnt vmcnt(16)
	v_mul_f64 v[68:69], v[66:67], v[195:196]
	v_fma_f64 v[93:94], v[48:49], v[169:170], v[159:160]
	v_mul_f64 v[48:49], v[58:59], v[167:168]
	v_mul_f64 v[70:71], v[64:65], v[195:196]
	v_fma_f64 v[253:254], v[76:77], v[161:162], v[84:85]
	v_fma_f64 v[169:170], v[50:51], v[169:170], -v[163:164]
	v_mul_f64 v[50:51], v[56:57], v[167:168]
	v_fma_f64 v[113:114], v[78:79], v[161:162], -v[86:87]
	v_mul_f64 v[76:77], v[74:75], v[191:192]
	v_mul_f64 v[78:79], v[72:73], v[191:192]
	v_fma_f64 v[167:168], v[56:57], v[165:166], v[48:49]
	s_waitcnt vmcnt(13)
	v_mul_f64 v[48:49], v[82:83], v[207:208]
	s_waitcnt vmcnt(12)
	v_mul_f64 v[56:57], v[119:120], v[211:212]
	v_fma_f64 v[191:192], v[64:65], v[193:194], v[68:69]
	v_fma_f64 v[165:166], v[58:59], v[165:166], -v[50:51]
	v_mul_f64 v[50:51], v[80:81], v[207:208]
	v_fma_f64 v[193:194], v[66:67], v[193:194], -v[70:71]
	v_mul_f64 v[58:59], v[117:118], v[211:212]
	v_mul_f64 v[64:65], v[125:126], v[203:204]
	v_fma_f64 v[207:208], v[80:81], v[205:206], v[48:49]
	v_mul_f64 v[48:49], v[127:128], v[203:204]
	v_mul_f64 v[66:67], v[135:136], v[199:200]
	ds_read_b128 v[52:55], v116 offset:31680
	ds_read_b128 v[60:63], v116 offset:32640
	v_fma_f64 v[203:204], v[82:83], v[205:206], -v[50:51]
	v_mul_f64 v[50:51], v[133:134], v[199:200]
	v_fma_f64 v[199:200], v[117:118], v[209:210], v[56:57]
	v_fma_f64 v[205:206], v[119:120], v[209:210], -v[58:59]
	v_fma_f64 v[195:196], v[72:73], v[189:190], v[76:77]
	v_fma_f64 v[209:210], v[125:126], v[201:202], v[48:49]
	v_fma_f64 v[189:190], v[74:75], v[189:190], -v[78:79]
	s_waitcnt vmcnt(11) lgkmcnt(3)
	v_mul_f64 v[56:57], v[175:176], v[22:23]
	v_mul_f64 v[22:23], v[173:174], v[22:23]
	s_waitcnt vmcnt(10) lgkmcnt(1)
	v_mul_f64 v[48:49], v[54:55], v[26:27]
	v_mul_f64 v[26:27], v[52:53], v[26:27]
	v_fma_f64 v[211:212], v[133:134], v[197:198], v[66:67]
	v_fma_f64 v[197:198], v[135:136], v[197:198], -v[50:51]
	ds_read_b128 v[157:160], v116
	ds_read_b128 v[161:164], v116 offset:33600
	s_mov_b32 s4, s6
	v_fma_f64 v[173:174], v[173:174], v[20:21], v[56:57]
	v_fma_f64 v[175:176], v[175:176], v[20:21], -v[22:23]
	v_fma_f64 v[88:89], v[52:53], v[24:25], v[48:49]
	s_waitcnt vmcnt(9)
	v_mul_f64 v[20:21], v[129:130], v[30:31]
	v_fma_f64 v[48:49], v[54:55], v[24:25], -v[26:27]
	v_mul_f64 v[58:59], v[131:132], v[30:31]
	s_waitcnt vmcnt(8)
	v_mul_f64 v[50:51], v[123:124], v[143:144]
	v_mul_f64 v[56:57], v[121:122], v[143:144]
	v_add_f64 v[72:73], v[223:224], v[231:232]
	v_fma_f64 v[201:202], v[127:128], v[201:202], -v[64:65]
	s_waitcnt vmcnt(7)
	v_mul_f64 v[26:27], v[181:182], v[34:35]
	s_waitcnt vmcnt(6)
	v_mul_f64 v[22:23], v[139:140], v[38:39]
	v_mul_f64 v[24:25], v[137:138], v[38:39]
	v_fma_f64 v[82:83], v[131:132], v[28:29], -v[20:21]
	v_mul_f64 v[20:21], v[183:184], v[34:35]
	v_fma_f64 v[80:81], v[129:130], v[28:29], v[58:59]
	v_fma_f64 v[76:77], v[121:122], v[141:142], v[50:51]
	v_fma_f64 v[70:71], v[123:124], v[141:142], -v[56:57]
	v_fma_f64 v[78:79], v[183:184], v[32:33], -v[26:27]
	v_fma_f64 v[84:85], v[137:138], v[36:37], v[22:23]
	s_waitcnt vmcnt(5) lgkmcnt(2)
	v_mul_f64 v[22:23], v[62:63], v[42:43]
	v_fma_f64 v[74:75], v[139:140], v[36:37], -v[24:25]
	v_fma_f64 v[86:87], v[181:182], v[32:33], v[20:21]
	s_waitcnt vmcnt(4)
	v_mul_f64 v[24:25], v[145:146], v[46:47]
	s_waitcnt vmcnt(2)
	v_mul_f64 v[20:21], v[155:156], v[151:152]
	v_mul_f64 v[28:29], v[60:61], v[42:43]
	;; [unrolled: 1-line block ×4, first 2 shown]
	v_fma_f64 v[68:69], v[60:61], v[40:41], v[22:23]
	v_mul_f64 v[22:23], v[153:154], v[151:152]
	v_add_f64 v[38:39], v[231:232], -v[239:240]
	v_fma_f64 v[181:182], v[147:148], v[44:45], -v[24:25]
	v_mul_f64 v[24:25], v[179:180], v[109:110]
	v_fma_f64 v[54:55], v[153:154], v[149:150], v[20:21]
	s_waitcnt vmcnt(1)
	v_mul_f64 v[20:21], v[187:188], v[215:216]
	v_fma_f64 v[66:67], v[62:63], v[40:41], -v[28:29]
	v_fma_f64 v[50:51], v[145:146], v[44:45], v[30:31]
	s_waitcnt vmcnt(0) lgkmcnt(0)
	v_mul_f64 v[30:31], v[163:164], v[219:220]
	v_fma_f64 v[60:61], v[155:156], v[149:150], -v[22:23]
	v_add_f64 v[22:23], v[225:226], v[233:234]
	v_fma_f64 v[58:59], v[177:178], v[107:108], v[24:25]
	v_add_f64 v[24:25], v[157:158], v[225:226]
	v_fma_f64 v[62:63], v[185:186], v[213:214], v[20:21]
	v_add_f64 v[20:21], v[231:232], v[239:240]
	v_fma_f64 v[56:57], v[179:180], v[107:108], -v[26:27]
	v_fma_f64 v[52:53], v[161:162], v[217:218], v[30:31]
	v_add_f64 v[26:27], v[227:228], -v[235:236]
	v_fma_f64 v[22:23], v[22:23], -0.5, v[157:158]
	v_add_f64 v[30:31], v[229:230], -v[237:238]
	v_add_f64 v[32:33], v[24:25], v[233:234]
	v_add_f64 v[24:25], v[229:230], v[237:238]
	v_fma_f64 v[20:21], v[20:21], -0.5, v[223:224]
	v_mul_f64 v[28:29], v[185:186], v[215:216]
	v_add_f64 v[36:37], v[227:228], v[235:236]
	v_add_f64 v[40:41], v[221:222], v[229:230]
	v_fma_f64 v[34:35], v[26:27], s[6:7], v[22:23]
	v_fma_f64 v[42:43], v[26:27], s[4:5], v[22:23]
	v_add_f64 v[26:27], v[159:160], v[227:228]
	v_fma_f64 v[24:25], v[24:25], -0.5, v[221:222]
	v_fma_f64 v[22:23], v[30:31], s[4:5], v[20:21]
	v_fma_f64 v[20:21], v[30:31], s[6:7], v[20:21]
	v_fma_f64 v[64:65], v[187:188], v[213:214], -v[28:29]
	v_mul_f64 v[28:29], v[161:162], v[219:220]
	v_fma_f64 v[30:31], v[36:37], -0.5, v[159:160]
	v_add_f64 v[36:37], v[225:226], -v[233:234]
	v_add_f64 v[107:108], v[26:27], v[235:236]
	v_fma_f64 v[44:45], v[38:39], s[6:7], v[24:25]
	v_fma_f64 v[24:25], v[38:39], s[4:5], v[24:25]
	v_mul_f64 v[38:39], v[22:23], s[6:7]
	v_mul_f64 v[46:47], v[20:21], s[6:7]
	v_mul_f64 v[22:23], v[22:23], 0.5
	v_mul_f64 v[20:21], v[20:21], -0.5
	v_add_f64 v[40:41], v[40:41], v[237:238]
	v_add_f64 v[117:118], v[72:73], v[239:240]
	;; [unrolled: 1-line block ×4, first 2 shown]
	v_fma_f64 v[38:39], v[44:45], 0.5, v[38:39]
	v_fma_f64 v[46:47], v[24:25], -0.5, v[46:47]
	v_fma_f64 v[109:110], v[36:37], s[4:5], v[30:31]
	v_fma_f64 v[119:120], v[36:37], s[6:7], v[30:31]
	;; [unrolled: 1-line block ×4, first 2 shown]
	v_fma_f64 v[72:73], v[163:164], v[217:218], -v[28:29]
	v_add_f64 v[28:29], v[32:33], v[40:41]
	v_add_f64 v[24:25], v[34:35], v[38:39]
	;; [unrolled: 1-line block ×4, first 2 shown]
	v_add_f64 v[32:33], v[32:33], -v[40:41]
	v_add_f64 v[40:41], v[34:35], -v[38:39]
	;; [unrolled: 1-line block ×3, first 2 shown]
	v_add_f64 v[38:39], v[16:17], v[245:246]
	v_fma_f64 v[16:17], v[123:124], -0.5, v[16:17]
	v_add_f64 v[46:47], v[105:106], -v[251:252]
	v_add_f64 v[123:124], v[247:248], v[253:254]
	v_add_f64 v[34:35], v[107:108], -v[117:118]
	v_fma_f64 v[107:108], v[125:126], -0.5, v[243:244]
	v_add_f64 v[117:118], v[247:248], -v[253:254]
	v_add_f64 v[26:27], v[109:110], v[44:45]
	v_add_f64 v[42:43], v[109:110], -v[44:45]
	v_add_f64 v[109:110], v[38:39], v[171:172]
	v_add_f64 v[38:39], v[105:106], v[251:252]
	v_fma_f64 v[125:126], v[46:47], s[6:7], v[16:17]
	v_fma_f64 v[44:45], v[123:124], -0.5, v[241:242]
	v_add_f64 v[123:124], v[249:250], -v[113:114]
	v_fma_f64 v[127:128], v[46:47], s[4:5], v[16:17]
	v_fma_f64 v[16:17], v[117:118], s[4:5], v[107:108]
	;; [unrolled: 1-line block ×3, first 2 shown]
	v_add_f64 v[107:108], v[241:242], v[247:248]
	v_add_f64 v[105:106], v[18:19], v[105:106]
	v_fma_f64 v[18:19], v[38:39], -0.5, v[18:19]
	v_add_f64 v[38:39], v[245:246], -v[171:172]
	v_fma_f64 v[117:118], v[123:124], s[6:7], v[44:45]
	v_fma_f64 v[44:45], v[123:124], s[4:5], v[44:45]
	v_mul_f64 v[123:124], v[16:17], s[6:7]
	v_mul_f64 v[129:130], v[46:47], s[6:7]
	v_add_f64 v[131:132], v[243:244], v[249:250]
	v_mul_f64 v[16:17], v[16:17], 0.5
	v_add_f64 v[137:138], v[107:108], v[253:254]
	v_add_f64 v[22:23], v[119:120], v[121:122]
	;; [unrolled: 1-line block ×3, first 2 shown]
	v_mul_f64 v[46:47], v[46:47], -0.5
	v_fma_f64 v[135:136], v[38:39], s[4:5], v[18:19]
	v_fma_f64 v[123:124], v[117:118], 0.5, v[123:124]
	v_fma_f64 v[129:130], v[44:45], -0.5, v[129:130]
	v_add_f64 v[113:114], v[131:132], v[113:114]
	v_fma_f64 v[131:132], v[38:39], s[6:7], v[18:19]
	v_fma_f64 v[139:140], v[117:118], s[4:5], v[16:17]
	v_add_f64 v[38:39], v[119:120], -v[121:122]
	v_add_f64 v[105:106], v[109:110], v[137:138]
	v_add_f64 v[119:120], v[167:168], v[195:196]
	v_add_f64 v[117:118], v[109:110], -v[137:138]
	v_add_f64 v[109:110], v[193:194], v[203:204]
	v_fma_f64 v[141:142], v[44:45], s[4:5], v[46:47]
	v_add_f64 v[44:45], v[125:126], v[123:124]
	v_add_f64 v[16:17], v[127:128], v[129:130]
	;; [unrolled: 1-line block ×3, first 2 shown]
	v_add_f64 v[121:122], v[125:126], -v[123:124]
	v_add_f64 v[125:126], v[127:128], -v[129:130]
	v_add_f64 v[127:128], v[12:13], v[167:168]
	v_fma_f64 v[12:13], v[119:120], -0.5, v[12:13]
	v_add_f64 v[129:130], v[165:166], -v[189:190]
	v_add_f64 v[137:138], v[191:192], v[207:208]
	v_add_f64 v[119:120], v[133:134], -v[113:114]
	v_fma_f64 v[109:110], v[109:110], -0.5, v[169:170]
	v_add_f64 v[113:114], v[191:192], -v[207:208]
	v_add_f64 v[46:47], v[135:136], v[139:140]
	v_add_f64 v[123:124], v[135:136], -v[139:140]
	v_add_f64 v[135:136], v[193:194], -v[203:204]
	v_fma_f64 v[143:144], v[129:130], s[6:7], v[12:13]
	v_fma_f64 v[133:134], v[137:138], -0.5, v[93:94]
	v_fma_f64 v[145:146], v[129:130], s[4:5], v[12:13]
	v_add_f64 v[93:94], v[93:94], v[191:192]
	v_fma_f64 v[12:13], v[113:114], s[4:5], v[109:110]
	v_fma_f64 v[109:110], v[113:114], s[6:7], v[109:110]
	v_add_f64 v[139:140], v[127:128], v[195:196]
	v_add_f64 v[127:128], v[165:166], v[189:190]
	;; [unrolled: 1-line block ×3, first 2 shown]
	v_fma_f64 v[129:130], v[135:136], s[6:7], v[133:134]
	v_fma_f64 v[133:134], v[135:136], s[4:5], v[133:134]
	v_add_f64 v[147:148], v[169:170], v[193:194]
	v_mul_f64 v[135:136], v[12:13], s[6:7]
	v_mul_f64 v[137:138], v[109:110], s[6:7]
	v_mul_f64 v[12:13], v[12:13], 0.5
	v_add_f64 v[93:94], v[93:94], v[207:208]
	v_fma_f64 v[14:15], v[127:128], -0.5, v[14:15]
	v_add_f64 v[127:128], v[167:168], -v[195:196]
	v_add_f64 v[113:114], v[113:114], v[189:190]
	v_mul_f64 v[109:110], v[109:110], -0.5
	v_fma_f64 v[151:152], v[129:130], 0.5, v[135:136]
	v_fma_f64 v[153:154], v[133:134], -0.5, v[137:138]
	v_add_f64 v[147:148], v[147:148], v[203:204]
	v_fma_f64 v[157:158], v[129:130], s[4:5], v[12:13]
	v_add_f64 v[12:13], v[139:140], v[93:94]
	v_add_f64 v[159:160], v[209:210], v[173:174]
	v_add_f64 v[137:138], v[139:140], -v[93:94]
	v_add_f64 v[93:94], v[197:198], v[48:49]
	v_add_f64 v[18:19], v[131:132], v[141:142]
	v_fma_f64 v[149:150], v[127:128], s[4:5], v[14:15]
	v_fma_f64 v[155:156], v[127:128], s[6:7], v[14:15]
	v_fma_f64 v[109:110], v[133:134], s[4:5], v[109:110]
	v_add_f64 v[127:128], v[131:132], -v[141:142]
	v_add_f64 v[129:130], v[143:144], v[151:152]
	v_add_f64 v[133:134], v[145:146], v[153:154]
	;; [unrolled: 1-line block ×3, first 2 shown]
	v_add_f64 v[141:142], v[143:144], -v[151:152]
	v_add_f64 v[145:146], v[145:146], -v[153:154]
	v_add_f64 v[151:152], v[8:9], v[209:210]
	v_fma_f64 v[8:9], v[159:160], -0.5, v[8:9]
	v_add_f64 v[153:154], v[201:202], -v[175:176]
	v_add_f64 v[159:160], v[211:212], v[88:89]
	v_add_f64 v[139:140], v[113:114], -v[147:148]
	v_fma_f64 v[93:94], v[93:94], -0.5, v[205:206]
	v_add_f64 v[113:114], v[211:212], -v[88:89]
	v_add_f64 v[131:132], v[149:150], v[157:158]
	v_add_f64 v[143:144], v[149:150], -v[157:158]
	v_add_f64 v[157:158], v[151:152], v[173:174]
	v_add_f64 v[147:148], v[201:202], v[175:176]
	v_fma_f64 v[161:162], v[153:154], s[6:7], v[8:9]
	v_fma_f64 v[149:150], v[159:160], -0.5, v[199:200]
	v_add_f64 v[151:152], v[197:198], -v[48:49]
	v_fma_f64 v[159:160], v[153:154], s[4:5], v[8:9]
	v_fma_f64 v[8:9], v[113:114], s[4:5], v[93:94]
	;; [unrolled: 1-line block ×3, first 2 shown]
	v_add_f64 v[153:154], v[199:200], v[211:212]
	v_add_f64 v[113:114], v[10:11], v[201:202]
	v_fma_f64 v[10:11], v[147:148], -0.5, v[10:11]
	v_add_f64 v[147:148], v[209:210], -v[173:174]
	v_fma_f64 v[163:164], v[151:152], s[6:7], v[149:150]
	v_fma_f64 v[149:150], v[151:152], s[4:5], v[149:150]
	v_mul_f64 v[151:152], v[8:9], s[6:7]
	v_mul_f64 v[165:166], v[93:94], s[6:7]
	v_add_f64 v[167:168], v[205:206], v[197:198]
	v_mul_f64 v[8:9], v[8:9], 0.5
	v_add_f64 v[88:89], v[153:154], v[88:89]
	v_add_f64 v[135:136], v[155:156], v[109:110]
	v_add_f64 v[113:114], v[113:114], v[175:176]
	v_mul_f64 v[93:94], v[93:94], -0.5
	v_fma_f64 v[169:170], v[147:148], s[4:5], v[10:11]
	v_fma_f64 v[171:172], v[163:164], 0.5, v[151:152]
	v_fma_f64 v[165:166], v[149:150], -0.5, v[165:166]
	v_add_f64 v[48:49], v[167:168], v[48:49]
	v_fma_f64 v[167:168], v[147:148], s[6:7], v[10:11]
	v_fma_f64 v[163:164], v[163:164], s[4:5], v[8:9]
	v_add_f64 v[147:148], v[155:156], -v[109:110]
	v_add_f64 v[8:9], v[157:158], v[88:89]
	v_add_f64 v[109:110], v[80:81], v[86:87]
	v_add_f64 v[157:158], v[157:158], -v[88:89]
	v_add_f64 v[88:89], v[74:75], v[66:67]
	v_fma_f64 v[93:94], v[149:150], s[4:5], v[93:94]
	v_add_f64 v[149:150], v[161:162], v[171:172]
	v_add_f64 v[153:154], v[159:160], v[165:166]
	;; [unrolled: 1-line block ×3, first 2 shown]
	v_add_f64 v[161:162], v[161:162], -v[171:172]
	v_add_f64 v[165:166], v[159:160], -v[165:166]
	v_add_f64 v[171:172], v[4:5], v[80:81]
	v_fma_f64 v[4:5], v[109:110], -0.5, v[4:5]
	v_add_f64 v[109:110], v[82:83], -v[78:79]
	v_add_f64 v[173:174], v[84:85], v[68:69]
	v_add_f64 v[159:160], v[113:114], -v[48:49]
	v_fma_f64 v[48:49], v[88:89], -0.5, v[70:71]
	v_add_f64 v[88:89], v[84:85], -v[68:69]
	v_add_f64 v[151:152], v[169:170], v[163:164]
	v_add_f64 v[163:164], v[169:170], -v[163:164]
	v_add_f64 v[113:114], v[171:172], v[86:87]
	v_add_f64 v[169:170], v[82:83], v[78:79]
	v_fma_f64 v[171:172], v[109:110], s[6:7], v[4:5]
	v_fma_f64 v[173:174], v[173:174], -0.5, v[76:77]
	v_add_f64 v[175:176], v[74:75], -v[66:67]
	v_fma_f64 v[109:110], v[109:110], s[4:5], v[4:5]
	v_fma_f64 v[4:5], v[88:89], s[4:5], v[48:49]
	v_fma_f64 v[48:49], v[88:89], s[6:7], v[48:49]
	v_add_f64 v[82:83], v[6:7], v[82:83]
	v_fma_f64 v[6:7], v[169:170], -0.5, v[6:7]
	v_add_f64 v[80:81], v[80:81], -v[86:87]
	v_add_f64 v[76:77], v[76:77], v[84:85]
	v_fma_f64 v[84:85], v[175:176], s[6:7], v[173:174]
	v_fma_f64 v[86:87], v[175:176], s[4:5], v[173:174]
	v_mul_f64 v[88:89], v[4:5], s[6:7]
	v_mul_f64 v[169:170], v[48:49], s[6:7]
	v_mul_f64 v[48:49], v[48:49], -0.5
	v_add_f64 v[70:71], v[70:71], v[74:75]
	v_add_f64 v[173:174], v[82:83], v[78:79]
	v_mul_f64 v[4:5], v[4:5], 0.5
	v_fma_f64 v[175:176], v[80:81], s[4:5], v[6:7]
	v_add_f64 v[78:79], v[76:77], v[68:69]
	v_fma_f64 v[82:83], v[84:85], 0.5, v[88:89]
	v_fma_f64 v[88:89], v[86:87], -0.5, v[169:170]
	v_fma_f64 v[177:178], v[80:81], s[6:7], v[6:7]
	v_fma_f64 v[48:49], v[86:87], s[4:5], v[48:49]
	v_add_f64 v[80:81], v[54:55], v[62:63]
	v_add_f64 v[86:87], v[56:57], v[72:73]
	;; [unrolled: 1-line block ×4, first 2 shown]
	v_fma_f64 v[84:85], v[84:85], s[4:5], v[4:5]
	v_add_f64 v[167:168], v[167:168], -v[93:94]
	v_add_f64 v[4:5], v[113:114], v[78:79]
	v_add_f64 v[66:67], v[171:172], v[82:83]
	;; [unrolled: 1-line block ×3, first 2 shown]
	v_add_f64 v[78:79], v[113:114], -v[78:79]
	v_add_f64 v[70:71], v[171:172], -v[82:83]
	v_add_f64 v[93:94], v[0:1], v[54:55]
	v_add_f64 v[82:83], v[109:110], -v[88:89]
	v_fma_f64 v[0:1], v[80:81], -0.5, v[0:1]
	v_add_f64 v[88:89], v[60:61], -v[64:65]
	v_add_f64 v[109:110], v[58:59], v[52:53]
	v_fma_f64 v[86:87], v[86:87], -0.5, v[181:182]
	v_add_f64 v[113:114], v[58:59], -v[52:53]
	v_add_f64 v[6:7], v[173:174], v[169:170]
	v_add_f64 v[80:81], v[173:174], -v[169:170]
	v_add_f64 v[169:170], v[2:3], v[60:61]
	v_add_f64 v[60:61], v[60:61], v[64:65]
	v_fma_f64 v[171:172], v[88:89], s[6:7], v[0:1]
	v_fma_f64 v[109:110], v[109:110], -0.5, v[50:51]
	v_add_f64 v[173:174], v[56:57], -v[72:73]
	v_fma_f64 v[88:89], v[88:89], s[4:5], v[0:1]
	v_fma_f64 v[0:1], v[113:114], s[4:5], v[86:87]
	;; [unrolled: 1-line block ×3, first 2 shown]
	v_add_f64 v[56:57], v[181:182], v[56:57]
	v_add_f64 v[93:94], v[93:94], v[62:63]
	v_fma_f64 v[2:3], v[60:61], -0.5, v[2:3]
	v_add_f64 v[54:55], v[54:55], -v[62:63]
	v_add_f64 v[50:51], v[50:51], v[58:59]
	v_fma_f64 v[58:59], v[173:174], s[6:7], v[109:110]
	v_fma_f64 v[60:61], v[173:174], s[4:5], v[109:110]
	v_mul_f64 v[62:63], v[0:1], s[6:7]
	v_mul_f64 v[109:110], v[86:87], s[6:7]
	v_mul_f64 v[86:87], v[86:87], -0.5
	v_mul_f64 v[0:1], v[0:1], 0.5
	v_add_f64 v[64:65], v[169:170], v[64:65]
	v_add_f64 v[179:180], v[56:57], v[72:73]
	v_fma_f64 v[173:174], v[54:55], s[6:7], v[2:3]
	v_add_f64 v[169:170], v[50:51], v[52:53]
	v_fma_f64 v[62:63], v[58:59], 0.5, v[62:63]
	v_fma_f64 v[113:114], v[54:55], s[4:5], v[2:3]
	v_fma_f64 v[86:87], v[60:61], s[4:5], v[86:87]
	;; [unrolled: 1-line block ×3, first 2 shown]
	v_fma_f64 v[109:110], v[60:61], -0.5, v[109:110]
	v_add_f64 v[2:3], v[64:65], v[179:180]
	v_add_f64 v[58:59], v[64:65], -v[179:180]
	v_mov_b32_e32 v65, 4
	v_add_f64 v[68:69], v[175:176], v[84:85]
	v_add_f64 v[76:77], v[177:178], v[48:49]
	v_add_f64 v[72:73], v[175:176], -v[84:85]
	v_add_f64 v[84:85], v[177:178], -v[48:49]
	v_add_f64 v[48:49], v[171:172], v[62:63]
	v_add_f64 v[54:55], v[173:174], v[86:87]
	v_add_f64 v[60:61], v[171:172], -v[62:63]
	v_add_f64 v[171:172], v[173:174], -v[86:87]
	v_mul_u32_u24_e32 v64, 0x3c0, v255
	v_lshlrev_b32_sdwa v86, v65, v115 dst_sel:DWORD dst_unused:UNUSED_PAD src0_sel:DWORD src1_sel:BYTE_0
	v_add3_u32 v64, 0, v64, v86
	s_waitcnt lgkmcnt(0)
	; wave barrier
	ds_write_b128 v64, v[28:31]
	ds_write_b128 v64, v[24:27] offset:160
	ds_write_b128 v64, v[20:23] offset:320
	;; [unrolled: 1-line block ×5, first 2 shown]
	v_mul_u32_u24_e32 v20, 0x3c0, v95
	v_lshlrev_b32_sdwa v21, v65, v96 dst_sel:DWORD dst_unused:UNUSED_PAD src0_sel:DWORD src1_sel:BYTE_0
	v_add3_u32 v20, 0, v20, v21
	v_add_f64 v[0:1], v[93:94], v[169:170]
	ds_write_b128 v20, v[105:108]
	ds_write_b128 v20, v[44:47] offset:160
	ds_write_b128 v20, v[16:19] offset:320
	;; [unrolled: 1-line block ×5, first 2 shown]
	v_mul_u32_u24_e32 v16, 0x3c0, v97
	v_lshlrev_b32_sdwa v17, v65, v98 dst_sel:DWORD dst_unused:UNUSED_PAD src0_sel:DWORD src1_sel:BYTE_0
	v_add_f64 v[50:51], v[113:114], v[181:182]
	v_add3_u32 v16, 0, v16, v17
	v_add_f64 v[52:53], v[88:89], v[109:110]
	ds_write_b128 v16, v[12:15]
	ds_write_b128 v16, v[129:132] offset:160
	ds_write_b128 v16, v[133:136] offset:320
	;; [unrolled: 1-line block ×5, first 2 shown]
	v_mul_u32_u24_e32 v12, 0x3c0, v99
	v_lshlrev_b32_sdwa v13, v65, v100 dst_sel:DWORD dst_unused:UNUSED_PAD src0_sel:DWORD src1_sel:BYTE_0
	v_add_f64 v[56:57], v[93:94], -v[169:170]
	v_add3_u32 v12, 0, v12, v13
	v_add_f64 v[62:63], v[113:114], -v[181:182]
	ds_write_b128 v12, v[8:11]
	ds_write_b128 v12, v[149:152] offset:160
	ds_write_b128 v12, v[153:156] offset:320
	;; [unrolled: 1-line block ×5, first 2 shown]
	v_mul_u32_u24_e32 v8, 0x3c0, v101
	v_lshlrev_b32_e32 v9, 4, v102
	v_add_f64 v[169:170], v[88:89], -v[109:110]
	v_add3_u32 v8, 0, v8, v9
	ds_write_b128 v8, v[4:7]
	ds_write_b128 v8, v[66:69] offset:160
	ds_write_b128 v8, v[74:77] offset:320
	;; [unrolled: 1-line block ×5, first 2 shown]
	v_mul_u32_u24_e32 v4, 0x3c0, v103
	v_lshlrev_b32_e32 v5, 4, v104
	v_add3_u32 v4, 0, v4, v5
	ds_write_b128 v4, v[0:3]
	ds_write_b128 v4, v[48:51] offset:160
	ds_write_b128 v4, v[52:55] offset:320
	ds_write_b128 v4, v[56:59] offset:480
	ds_write_b128 v4, v[60:63] offset:640
	ds_write_b128 v4, v[169:172] offset:800
	v_mul_u32_u24_e32 v0, 5, v112
	v_lshlrev_b32_e32 v115, 4, v0
	s_waitcnt lgkmcnt(0)
	; wave barrier
	s_waitcnt lgkmcnt(0)
	global_load_dwordx4 v[24:27], v115, s[8:9] offset:800
	global_load_dwordx4 v[28:31], v115, s[8:9] offset:816
	;; [unrolled: 1-line block ×4, first 2 shown]
	ds_read_b128 v[16:19], v116 offset:960
	ds_read_b128 v[12:15], v116 offset:1920
	;; [unrolled: 1-line block ×34, first 2 shown]
	global_load_dwordx4 v[173:176], v115, s[8:9] offset:864
	v_mul_lo_u16_sdwa v82, v92, s10 dst_sel:DWORD dst_unused:UNUSED_PAD src0_sel:BYTE_0 src1_sel:DWORD
	v_lshrrev_b16_e32 v82, 13, v82
	v_mul_lo_u16_e32 v82, 60, v82
	v_sub_u16_e32 v82, v92, v82
	v_and_b32_e32 v85, 0xff, v82
	v_mul_u32_u24_e32 v82, 5, v85
	v_lshlrev_b32_e32 v86, 4, v82
	global_load_dwordx4 v[177:180], v86, s[8:9] offset:800
	ds_read_b128 v[181:184], v116
	ds_read_b128 v[185:188], v116 offset:33600
	global_load_dwordx4 v[189:192], v86, s[8:9] offset:832
	global_load_dwordx4 v[193:196], v86, s[8:9] offset:816
	v_mov_b32_e32 v82, s9
	s_waitcnt vmcnt(7) lgkmcnt(11)
	v_mul_f64 v[80:81], v[143:144], v[26:27]
	v_mul_f64 v[83:84], v[141:142], v[26:27]
	s_waitcnt vmcnt(5) lgkmcnt(7)
	v_mul_f64 v[87:88], v[155:156], v[34:35]
	v_mul_f64 v[209:210], v[153:154], v[34:35]
	;; [unrolled: 1-line block ×3, first 2 shown]
	s_waitcnt vmcnt(4)
	v_mul_f64 v[247:248], v[66:67], v[38:39]
	v_fma_f64 v[109:110], v[141:142], v[24:25], v[80:81]
	v_fma_f64 v[113:114], v[143:144], v[24:25], -v[83:84]
	v_mul_f64 v[80:81], v[147:148], v[30:31]
	v_mul_f64 v[83:84], v[145:146], v[30:31]
	global_load_dwordx4 v[141:144], v86, s[8:9] offset:848
	global_load_dwordx4 v[197:200], v86, s[8:9] offset:864
	v_mul_lo_u16_sdwa v86, v91, s10 dst_sel:DWORD dst_unused:UNUSED_PAD src0_sel:BYTE_0 src1_sel:DWORD
	v_lshrrev_b16_e32 v86, 13, v86
	v_mul_lo_u16_e32 v86, 60, v86
	v_sub_u16_e32 v86, v91, v86
	v_and_b32_e32 v86, 0xff, v86
	v_mul_u32_u24_e32 v89, 5, v86
	v_lshlrev_b32_e32 v211, 4, v89
	global_load_dwordx4 v[201:204], v211, s[8:9] offset:816
	global_load_dwordx4 v[205:208], v211, s[8:9] offset:800
	v_fma_f64 v[91:92], v[145:146], v[28:29], v[80:81]
	v_fma_f64 v[229:230], v[147:148], v[28:29], -v[83:84]
	v_fma_f64 v[231:232], v[153:154], v[32:33], v[87:88]
	v_fma_f64 v[233:234], v[155:156], v[32:33], -v[209:210]
	global_load_dwordx4 v[145:148], v211, s[8:9] offset:848
	global_load_dwordx4 v[153:156], v211, s[8:9] offset:832
	s_mov_b32 s10, 0x8889
	global_load_dwordx4 v[209:212], v211, s[8:9] offset:864
	v_mul_u32_u24_sdwa v87, v90, s10 dst_sel:DWORD dst_unused:UNUSED_PAD src0_sel:WORD_0 src1_sel:DWORD
	v_lshrrev_b32_e32 v87, 21, v87
	v_mul_lo_u16_e32 v87, 60, v87
	v_sub_u16_e32 v87, v90, v87
	v_mul_u32_u24_e32 v90, 5, v87
	v_lshlrev_b32_e32 v90, 4, v90
	global_load_dwordx4 v[213:216], v90, s[8:9] offset:800
	v_mul_f64 v[88:89], v[42:43], v[26:27]
	v_mul_f64 v[26:27], v[40:41], v[26:27]
	;; [unrolled: 1-line block ×3, first 2 shown]
	global_load_dwordx4 v[217:220], v90, s[8:9] offset:832
	global_load_dwordx4 v[221:224], v90, s[8:9] offset:816
	s_waitcnt lgkmcnt(5)
	v_mul_f64 v[80:81], v[163:164], v[38:39]
	v_mul_f64 v[83:84], v[161:162], v[38:39]
	v_fma_f64 v[243:244], v[48:49], v[28:29], v[225:226]
	v_mul_f64 v[38:39], v[64:65], v[38:39]
	v_fma_f64 v[239:240], v[40:41], v[24:25], v[88:89]
	v_fma_f64 v[241:242], v[42:43], v[24:25], -v[26:27]
	v_fma_f64 v[245:246], v[50:51], v[28:29], -v[30:31]
	global_load_dwordx4 v[24:27], v90, s[8:9] offset:848
	global_load_dwordx4 v[28:31], v90, s[8:9] offset:864
	v_mul_u32_u24_sdwa v40, v111, s10 dst_sel:DWORD dst_unused:UNUSED_PAD src0_sel:WORD_0 src1_sel:DWORD
	v_lshrrev_b32_e32 v40, 21, v40
	v_mul_lo_u16_e32 v40, 60, v40
	v_sub_u16_e32 v89, v111, v40
	v_mul_u32_u24_e32 v40, 5, v89
	v_lshlrev_b32_e32 v88, 4, v40
	v_fma_f64 v[235:236], v[161:162], v[36:37], v[80:81]
	v_fma_f64 v[237:238], v[163:164], v[36:37], -v[83:84]
	global_load_dwordx4 v[40:43], v88, s[8:9] offset:816
	global_load_dwordx4 v[48:51], v88, s[8:9] offset:800
	v_mul_f64 v[80:81], v[58:59], v[34:35]
	v_mul_f64 v[34:35], v[56:57], v[34:35]
	global_load_dwordx4 v[161:164], v88, s[8:9] offset:848
	global_load_dwordx4 v[225:228], v88, s[8:9] offset:832
	v_fma_f64 v[247:248], v[64:65], v[36:37], v[247:248]
	s_waitcnt vmcnt(19)
	v_mul_f64 v[64:65], v[74:75], v[175:176]
	v_fma_f64 v[38:39], v[66:67], v[36:37], -v[38:39]
	v_mul_f64 v[36:37], v[72:73], v[175:176]
	s_waitcnt vmcnt(18)
	v_mul_f64 v[66:67], v[46:47], v[179:180]
	v_fma_f64 v[249:250], v[56:57], v[32:33], v[80:81]
	v_fma_f64 v[251:252], v[58:59], v[32:33], -v[34:35]
	global_load_dwordx4 v[32:35], v88, s[8:9] offset:864
	s_waitcnt lgkmcnt(3)
	v_mul_f64 v[56:57], v[171:172], v[175:176]
	v_mul_f64 v[58:59], v[169:170], v[175:176]
	v_fma_f64 v[175:176], v[72:73], v[173:174], v[64:65]
	s_waitcnt vmcnt(17)
	v_mul_f64 v[64:65], v[52:53], v[195:196]
	s_waitcnt lgkmcnt(0)
	; wave barrier
	s_waitcnt lgkmcnt(0)
	v_add_co_u32_e32 v83, vcc, s8, v115
	v_fma_f64 v[169:170], v[169:170], v[173:174], v[56:57]
	v_fma_f64 v[171:172], v[171:172], v[173:174], -v[58:59]
	v_mul_f64 v[56:57], v[44:45], v[179:180]
	v_mul_f64 v[58:59], v[54:55], v[195:196]
	v_fma_f64 v[173:174], v[74:75], v[173:174], -v[36:37]
	v_mul_f64 v[36:37], v[62:63], v[191:192]
	v_fma_f64 v[179:180], v[44:45], v[177:178], v[66:67]
	v_mul_f64 v[44:45], v[60:61], v[191:192]
	v_addc_co_u32_e32 v84, vcc, 0, v82, vcc
	v_fma_f64 v[177:178], v[46:47], v[177:178], -v[56:57]
	v_fma_f64 v[191:192], v[52:53], v[193:194], v[58:59]
	v_fma_f64 v[193:194], v[54:55], v[193:194], -v[64:65]
	s_movk_i32 s9, 0x15e0
	s_movk_i32 s10, 0x28a0
	s_waitcnt vmcnt(16)
	v_mul_f64 v[46:47], v[70:71], v[143:144]
	v_mul_f64 v[52:53], v[68:69], v[143:144]
	s_waitcnt vmcnt(15)
	v_mul_f64 v[54:55], v[78:79], v[199:200]
	v_fma_f64 v[143:144], v[60:61], v[189:190], v[36:37]
	v_mul_f64 v[36:37], v[76:77], v[199:200]
	v_fma_f64 v[189:190], v[62:63], v[189:190], -v[44:45]
	v_add_f64 v[62:63], v[109:110], v[231:232]
	v_fma_f64 v[195:196], v[68:69], v[141:142], v[46:47]
	s_waitcnt vmcnt(13)
	v_mul_f64 v[44:45], v[95:96], v[207:208]
	v_mul_f64 v[46:47], v[93:94], v[207:208]
	v_fma_f64 v[141:142], v[70:71], v[141:142], -v[52:53]
	v_fma_f64 v[199:200], v[76:77], v[197:198], v[54:55]
	v_mul_f64 v[52:53], v[103:104], v[203:204]
	v_fma_f64 v[197:198], v[78:79], v[197:198], -v[36:37]
	s_waitcnt vmcnt(11)
	v_mul_f64 v[36:37], v[119:120], v[155:156]
	v_mul_f64 v[54:55], v[101:102], v[203:204]
	v_fma_f64 v[203:204], v[93:94], v[205:206], v[44:45]
	v_fma_f64 v[205:206], v[95:96], v[205:206], -v[46:47]
	v_mul_f64 v[44:45], v[117:118], v[155:156]
	v_mul_f64 v[46:47], v[127:128], v[147:148]
	v_fma_f64 v[155:156], v[101:102], v[201:202], v[52:53]
	v_mul_f64 v[52:53], v[125:126], v[147:148]
	v_fma_f64 v[147:148], v[117:118], v[153:154], v[36:37]
	s_waitcnt vmcnt(10)
	v_mul_f64 v[36:37], v[135:136], v[211:212]
	v_fma_f64 v[201:202], v[103:104], v[201:202], -v[54:55]
	v_mul_f64 v[54:55], v[133:134], v[211:212]
	v_fma_f64 v[153:154], v[119:120], v[153:154], -v[44:45]
	v_fma_f64 v[207:208], v[125:126], v[145:146], v[46:47]
	s_waitcnt vmcnt(9)
	v_mul_f64 v[44:45], v[99:100], v[215:216]
	v_mul_f64 v[46:47], v[97:98], v[215:216]
	v_fma_f64 v[145:146], v[127:128], v[145:146], -v[52:53]
	v_fma_f64 v[211:212], v[133:134], v[209:210], v[36:37]
	s_waitcnt vmcnt(7)
	v_mul_f64 v[36:37], v[105:106], v[223:224]
	v_mul_f64 v[52:53], v[107:108], v[223:224]
	v_fma_f64 v[135:136], v[135:136], v[209:210], -v[54:55]
	v_mul_f64 v[54:55], v[123:124], v[219:220]
	v_fma_f64 v[72:73], v[97:98], v[213:214], v[44:45]
	v_fma_f64 v[68:69], v[99:100], v[213:214], -v[46:47]
	v_mul_f64 v[44:45], v[121:122], v[219:220]
	s_waitcnt vmcnt(6)
	v_mul_f64 v[46:47], v[131:132], v[26:27]
	v_mul_f64 v[26:27], v[129:130], v[26:27]
	v_fma_f64 v[80:81], v[107:108], v[221:222], -v[36:37]
	s_waitcnt vmcnt(5)
	v_mul_f64 v[36:37], v[139:140], v[30:31]
	v_mul_f64 v[30:31], v[137:138], v[30:31]
	v_fma_f64 v[76:77], v[105:106], v[221:222], v[52:53]
	v_fma_f64 v[78:79], v[121:122], v[217:218], v[54:55]
	v_fma_f64 v[70:71], v[123:124], v[217:218], -v[44:45]
	s_waitcnt vmcnt(3)
	v_mul_f64 v[44:45], v[151:152], v[50:51]
	v_fma_f64 v[209:210], v[129:130], v[24:25], v[46:47]
	v_fma_f64 v[74:75], v[131:132], v[24:25], -v[26:27]
	v_mul_f64 v[24:25], v[149:150], v[50:51]
	v_mul_f64 v[26:27], v[159:160], v[42:43]
	v_fma_f64 v[66:67], v[137:138], v[28:29], v[36:37]
	v_fma_f64 v[64:65], v[139:140], v[28:29], -v[30:31]
	v_mul_f64 v[28:29], v[157:158], v[42:43]
	s_waitcnt vmcnt(1)
	v_mul_f64 v[30:31], v[167:168], v[227:228]
	v_mul_f64 v[36:37], v[165:166], v[227:228]
	v_fma_f64 v[46:47], v[149:150], v[48:49], v[44:45]
	v_fma_f64 v[44:45], v[151:152], v[48:49], -v[24:25]
	v_fma_f64 v[48:49], v[157:158], v[40:41], v[26:27]
	v_mul_f64 v[24:25], v[22:23], v[163:164]
	v_mul_f64 v[26:27], v[20:21], v[163:164]
	v_fma_f64 v[52:53], v[159:160], v[40:41], -v[28:29]
	v_add_f64 v[28:29], v[91:92], v[235:236]
	v_fma_f64 v[54:55], v[165:166], v[225:226], v[30:31]
	v_fma_f64 v[50:51], v[167:168], v[225:226], -v[36:37]
	s_waitcnt vmcnt(0)
	v_mul_f64 v[30:31], v[187:188], v[34:35]
	v_add_f64 v[36:37], v[233:234], v[171:172]
	v_fma_f64 v[58:59], v[20:21], v[161:162], v[24:25]
	v_fma_f64 v[60:61], v[22:23], v[161:162], -v[26:27]
	v_add_f64 v[24:25], v[229:230], -v[237:238]
	v_fma_f64 v[22:23], v[28:29], -0.5, v[181:182]
	v_add_f64 v[26:27], v[231:232], v[169:170]
	v_add_f64 v[20:21], v[181:182], v[91:92]
	v_fma_f64 v[56:57], v[185:186], v[32:33], v[30:31]
	v_fma_f64 v[28:29], v[36:37], -0.5, v[113:114]
	v_add_f64 v[30:31], v[231:232], -v[169:170]
	v_add_f64 v[42:43], v[233:234], -v[171:172]
	v_mul_f64 v[34:35], v[185:186], v[34:35]
	v_fma_f64 v[40:41], v[24:25], s[6:7], v[22:23]
	v_fma_f64 v[26:27], v[26:27], -0.5, v[109:110]
	v_fma_f64 v[93:94], v[24:25], s[4:5], v[22:23]
	v_add_f64 v[36:37], v[20:21], v[235:236]
	v_add_f64 v[20:21], v[229:230], v[237:238]
	v_fma_f64 v[24:25], v[30:31], s[6:7], v[28:29]
	v_fma_f64 v[22:23], v[30:31], s[4:5], v[28:29]
	v_add_f64 v[28:29], v[183:184], v[229:230]
	v_add_f64 v[30:31], v[91:92], -v[235:236]
	v_fma_f64 v[90:91], v[42:43], s[6:7], v[26:27]
	v_fma_f64 v[26:27], v[42:43], s[4:5], v[26:27]
	v_add_f64 v[97:98], v[113:114], v[233:234]
	v_add_f64 v[103:104], v[62:63], v[169:170]
	v_mul_f64 v[95:96], v[24:25], s[6:7]
	v_fma_f64 v[20:21], v[20:21], -0.5, v[183:184]
	v_mul_f64 v[42:43], v[22:23], s[6:7]
	v_add_f64 v[99:100], v[28:29], v[237:238]
	v_mul_f64 v[22:23], v[22:23], 0.5
	v_fma_f64 v[62:63], v[187:188], v[32:33], -v[34:35]
	v_add_f64 v[97:98], v[97:98], v[171:172]
	v_add_f64 v[28:29], v[36:37], v[103:104]
	v_fma_f64 v[95:96], v[26:27], -0.5, v[95:96]
	v_add_f64 v[34:35], v[243:244], v[247:248]
	v_add_f64 v[32:33], v[36:37], -v[103:104]
	v_add_f64 v[103:104], v[251:252], v[173:174]
	v_mul_f64 v[24:25], v[24:25], -0.5
	v_fma_f64 v[101:102], v[30:31], s[4:5], v[20:21]
	v_fma_f64 v[42:43], v[90:91], 0.5, v[42:43]
	v_fma_f64 v[105:106], v[30:31], s[6:7], v[20:21]
	v_fma_f64 v[90:91], v[90:91], s[4:5], v[22:23]
	v_add_f64 v[20:21], v[93:94], v[95:96]
	v_add_f64 v[30:31], v[99:100], v[97:98]
	v_add_f64 v[36:37], v[93:94], -v[95:96]
	v_add_f64 v[92:93], v[16:17], v[243:244]
	v_fma_f64 v[16:17], v[34:35], -0.5, v[16:17]
	v_add_f64 v[94:95], v[245:246], -v[38:39]
	v_add_f64 v[109:110], v[249:250], v[175:176]
	v_add_f64 v[34:35], v[99:100], -v[97:98]
	v_fma_f64 v[96:97], v[103:104], -0.5, v[241:242]
	v_add_f64 v[98:99], v[249:250], -v[175:176]
	v_fma_f64 v[107:108], v[26:27], s[4:5], v[24:25]
	v_add_f64 v[24:25], v[40:41], v[42:43]
	v_add_f64 v[26:27], v[101:102], v[90:91]
	v_add_f64 v[40:41], v[40:41], -v[42:43]
	v_add_f64 v[42:43], v[101:102], -v[90:91]
	v_add_f64 v[100:101], v[92:93], v[247:248]
	v_fma_f64 v[102:103], v[94:95], s[6:7], v[16:17]
	v_fma_f64 v[92:93], v[109:110], -0.5, v[239:240]
	v_add_f64 v[109:110], v[251:252], -v[173:174]
	v_fma_f64 v[113:114], v[94:95], s[4:5], v[16:17]
	v_fma_f64 v[16:17], v[98:99], s[4:5], v[96:97]
	;; [unrolled: 1-line block ×3, first 2 shown]
	v_add_f64 v[96:97], v[18:19], v[245:246]
	v_add_f64 v[90:91], v[245:246], v[38:39]
	;; [unrolled: 1-line block ×4, first 2 shown]
	v_fma_f64 v[117:118], v[109:110], s[6:7], v[92:93]
	v_fma_f64 v[92:93], v[109:110], s[4:5], v[92:93]
	v_mul_f64 v[109:110], v[16:17], s[6:7]
	v_mul_f64 v[119:120], v[94:95], s[6:7]
	v_add_f64 v[123:124], v[96:97], v[38:39]
	v_mul_f64 v[38:39], v[94:95], -0.5
	v_add_f64 v[22:23], v[105:106], v[107:108]
	v_fma_f64 v[18:19], v[90:91], -0.5, v[18:19]
	v_add_f64 v[90:91], v[243:244], -v[247:248]
	v_mul_f64 v[16:17], v[16:17], 0.5
	v_add_f64 v[98:99], v[98:99], v[175:176]
	v_fma_f64 v[109:110], v[117:118], 0.5, v[109:110]
	v_fma_f64 v[119:120], v[92:93], -0.5, v[119:120]
	v_add_f64 v[121:122], v[121:122], v[173:174]
	v_fma_f64 v[129:130], v[92:93], s[4:5], v[38:39]
	v_add_f64 v[38:39], v[105:106], -v[107:108]
	v_add_f64 v[104:105], v[191:192], v[195:196]
	v_add_f64 v[131:132], v[189:190], v[197:198]
	v_fma_f64 v[125:126], v[90:91], s[4:5], v[18:19]
	v_fma_f64 v[127:128], v[90:91], s[6:7], v[18:19]
	;; [unrolled: 1-line block ×3, first 2 shown]
	v_add_f64 v[90:91], v[100:101], v[98:99]
	v_add_f64 v[94:95], v[102:103], v[109:110]
	;; [unrolled: 1-line block ×4, first 2 shown]
	v_add_f64 v[98:99], v[100:101], -v[98:99]
	v_add_f64 v[102:103], v[102:103], -v[109:110]
	;; [unrolled: 1-line block ×3, first 2 shown]
	v_add_f64 v[108:109], v[12:13], v[191:192]
	v_fma_f64 v[12:13], v[104:105], -0.5, v[12:13]
	v_add_f64 v[110:111], v[193:194], -v[141:142]
	v_add_f64 v[113:114], v[143:144], v[199:200]
	v_add_f64 v[100:101], v[123:124], -v[121:122]
	v_fma_f64 v[119:120], v[131:132], -0.5, v[177:178]
	v_add_f64 v[121:122], v[143:144], -v[199:200]
	v_add_f64 v[96:97], v[125:126], v[117:118]
	v_add_f64 v[104:105], v[125:126], -v[117:118]
	v_add_f64 v[125:126], v[108:109], v[195:196]
	v_add_f64 v[108:109], v[193:194], v[141:142]
	v_fma_f64 v[131:132], v[110:111], s[6:7], v[12:13]
	v_fma_f64 v[113:114], v[113:114], -0.5, v[179:180]
	v_add_f64 v[117:118], v[189:190], -v[197:198]
	v_fma_f64 v[110:111], v[110:111], s[4:5], v[12:13]
	v_fma_f64 v[12:13], v[121:122], s[4:5], v[119:120]
	;; [unrolled: 1-line block ×3, first 2 shown]
	v_add_f64 v[123:124], v[179:180], v[143:144]
	v_add_f64 v[121:122], v[14:15], v[193:194]
	v_fma_f64 v[14:15], v[108:109], -0.5, v[14:15]
	v_add_f64 v[108:109], v[191:192], -v[195:196]
	v_fma_f64 v[133:134], v[117:118], s[6:7], v[113:114]
	v_fma_f64 v[113:114], v[117:118], s[4:5], v[113:114]
	v_mul_f64 v[117:118], v[12:13], s[6:7]
	v_mul_f64 v[137:138], v[119:120], s[6:7]
	v_add_f64 v[139:140], v[177:178], v[189:190]
	v_mul_f64 v[12:13], v[12:13], 0.5
	v_add_f64 v[149:150], v[123:124], v[199:200]
	v_add_f64 v[18:19], v[127:128], v[129:130]
	;; [unrolled: 1-line block ×3, first 2 shown]
	v_mul_f64 v[119:120], v[119:120], -0.5
	v_fma_f64 v[143:144], v[108:109], s[4:5], v[14:15]
	v_fma_f64 v[151:152], v[133:134], 0.5, v[117:118]
	v_fma_f64 v[137:138], v[113:114], -0.5, v[137:138]
	v_add_f64 v[139:140], v[139:140], v[197:198]
	v_fma_f64 v[157:158], v[108:109], s[6:7], v[14:15]
	v_fma_f64 v[159:160], v[133:134], s[4:5], v[12:13]
	v_add_f64 v[108:109], v[127:128], -v[129:130]
	v_add_f64 v[12:13], v[125:126], v[149:150]
	v_add_f64 v[127:128], v[155:156], v[207:208]
	v_add_f64 v[125:126], v[125:126], -v[149:150]
	v_add_f64 v[149:150], v[153:154], v[135:136]
	v_fma_f64 v[113:114], v[113:114], s[4:5], v[119:120]
	v_add_f64 v[117:118], v[131:132], v[151:152]
	v_add_f64 v[121:122], v[110:111], v[137:138]
	v_add_f64 v[14:15], v[141:142], v[139:140]
	v_add_f64 v[119:120], v[143:144], v[159:160]
	v_add_f64 v[129:130], v[131:132], -v[151:152]
	v_add_f64 v[133:134], v[110:111], -v[137:138]
	v_add_f64 v[110:111], v[8:9], v[155:156]
	v_fma_f64 v[8:9], v[127:128], -0.5, v[8:9]
	v_add_f64 v[137:138], v[201:202], -v[145:146]
	v_add_f64 v[151:152], v[147:148], v[211:212]
	v_add_f64 v[127:128], v[141:142], -v[139:140]
	v_fma_f64 v[139:140], v[149:150], -0.5, v[205:206]
	v_add_f64 v[141:142], v[147:148], -v[211:212]
	v_add_f64 v[131:132], v[143:144], -v[159:160]
	v_add_f64 v[143:144], v[201:202], v[145:146]
	v_add_f64 v[159:160], v[153:154], -v[135:136]
	v_fma_f64 v[149:150], v[137:138], s[6:7], v[8:9]
	v_fma_f64 v[151:152], v[151:152], -0.5, v[203:204]
	v_fma_f64 v[161:162], v[137:138], s[4:5], v[8:9]
	v_add_f64 v[110:111], v[110:111], v[207:208]
	v_fma_f64 v[8:9], v[141:142], s[4:5], v[139:140]
	v_fma_f64 v[137:138], v[141:142], s[6:7], v[139:140]
	v_add_f64 v[139:140], v[10:11], v[201:202]
	v_fma_f64 v[10:11], v[143:144], -0.5, v[10:11]
	v_add_f64 v[143:144], v[203:204], v[147:148]
	v_add_f64 v[141:142], v[155:156], -v[207:208]
	v_fma_f64 v[147:148], v[159:160], s[6:7], v[151:152]
	v_fma_f64 v[151:152], v[159:160], s[4:5], v[151:152]
	v_mul_f64 v[155:156], v[8:9], s[6:7]
	v_mul_f64 v[159:160], v[137:138], s[6:7]
	v_add_f64 v[153:154], v[205:206], v[153:154]
	v_add_f64 v[163:164], v[139:140], v[145:146]
	v_mul_f64 v[8:9], v[8:9], 0.5
	v_add_f64 v[145:146], v[143:144], v[211:212]
	v_add_f64 v[123:124], v[157:158], v[113:114]
	v_mul_f64 v[137:138], v[137:138], -0.5
	v_fma_f64 v[155:156], v[147:148], 0.5, v[155:156]
	v_fma_f64 v[159:160], v[151:152], -0.5, v[159:160]
	v_add_f64 v[167:168], v[153:154], v[135:136]
	v_add_f64 v[135:136], v[157:158], -v[113:114]
	v_fma_f64 v[171:172], v[147:148], s[4:5], v[8:9]
	v_add_f64 v[8:9], v[110:111], v[145:146]
	v_add_f64 v[113:114], v[76:77], v[209:210]
	v_add_f64 v[145:146], v[110:111], -v[145:146]
	v_add_f64 v[110:111], v[70:71], v[64:65]
	v_fma_f64 v[165:166], v[141:142], s[4:5], v[10:11]
	v_fma_f64 v[169:170], v[141:142], s[6:7], v[10:11]
	;; [unrolled: 1-line block ×3, first 2 shown]
	v_add_f64 v[137:138], v[149:150], v[155:156]
	v_add_f64 v[141:142], v[161:162], v[159:160]
	v_add_f64 v[149:150], v[149:150], -v[155:156]
	v_add_f64 v[153:154], v[161:162], -v[159:160]
	v_add_f64 v[155:156], v[4:5], v[76:77]
	v_fma_f64 v[4:5], v[113:114], -0.5, v[4:5]
	v_add_f64 v[113:114], v[80:81], -v[74:75]
	v_add_f64 v[157:158], v[78:79], v[66:67]
	v_fma_f64 v[110:111], v[110:111], -0.5, v[68:69]
	v_add_f64 v[159:160], v[78:79], -v[66:67]
	v_add_f64 v[10:11], v[163:164], v[167:168]
	v_add_f64 v[139:140], v[165:166], v[171:172]
	v_add_f64 v[147:148], v[163:164], -v[167:168]
	v_add_f64 v[151:152], v[165:166], -v[171:172]
	v_add_f64 v[161:162], v[155:156], v[209:210]
	v_add_f64 v[155:156], v[80:81], v[74:75]
	v_fma_f64 v[163:164], v[113:114], s[6:7], v[4:5]
	v_fma_f64 v[157:158], v[157:158], -0.5, v[72:73]
	v_add_f64 v[165:166], v[70:71], -v[64:65]
	v_fma_f64 v[113:114], v[113:114], s[4:5], v[4:5]
	v_fma_f64 v[4:5], v[159:160], s[4:5], v[110:111]
	;; [unrolled: 1-line block ×3, first 2 shown]
	v_add_f64 v[72:73], v[72:73], v[78:79]
	v_add_f64 v[80:81], v[6:7], v[80:81]
	v_fma_f64 v[6:7], v[155:156], -0.5, v[6:7]
	v_add_f64 v[68:69], v[68:69], v[70:71]
	v_fma_f64 v[78:79], v[165:166], s[6:7], v[157:158]
	v_fma_f64 v[155:156], v[165:166], s[4:5], v[157:158]
	v_mul_f64 v[157:158], v[4:5], s[6:7]
	v_mul_f64 v[159:160], v[110:111], s[6:7]
	v_mul_f64 v[4:5], v[4:5], 0.5
	v_mul_f64 v[70:71], v[110:111], -0.5
	v_add_f64 v[72:73], v[72:73], v[66:67]
	v_add_f64 v[143:144], v[169:170], v[173:174]
	v_add_f64 v[76:77], v[76:77], -v[209:210]
	v_add_f64 v[74:75], v[80:81], v[74:75]
	v_fma_f64 v[110:111], v[78:79], 0.5, v[157:158]
	v_fma_f64 v[157:158], v[155:156], -0.5, v[159:160]
	v_add_f64 v[159:160], v[68:69], v[64:65]
	v_fma_f64 v[78:79], v[78:79], s[4:5], v[4:5]
	v_fma_f64 v[167:168], v[155:156], s[4:5], v[70:71]
	v_add_f64 v[155:156], v[169:170], -v[173:174]
	v_add_f64 v[4:5], v[161:162], v[72:73]
	v_add_f64 v[169:170], v[48:49], v[58:59]
	v_add_f64 v[72:73], v[161:162], -v[72:73]
	v_add_f64 v[161:162], v[50:51], v[62:63]
	v_fma_f64 v[80:81], v[76:77], s[4:5], v[6:7]
	v_fma_f64 v[165:166], v[76:77], s[6:7], v[6:7]
	v_add_f64 v[64:65], v[163:164], v[110:111]
	v_add_f64 v[68:69], v[113:114], v[157:158]
	;; [unrolled: 1-line block ×3, first 2 shown]
	v_add_f64 v[76:77], v[163:164], -v[110:111]
	v_add_f64 v[110:111], v[0:1], v[48:49]
	v_add_f64 v[157:158], v[113:114], -v[157:158]
	v_fma_f64 v[0:1], v[169:170], -0.5, v[0:1]
	v_add_f64 v[113:114], v[52:53], -v[60:61]
	v_add_f64 v[163:164], v[54:55], v[56:57]
	v_add_f64 v[74:75], v[74:75], -v[159:160]
	v_fma_f64 v[159:160], v[161:162], -0.5, v[44:45]
	v_add_f64 v[161:162], v[54:55], -v[56:57]
	v_add_f64 v[169:170], v[2:3], v[52:53]
	v_add_f64 v[52:53], v[52:53], v[60:61]
	v_add_f64 v[173:174], v[50:51], -v[62:63]
	v_fma_f64 v[171:172], v[113:114], s[6:7], v[0:1]
	v_fma_f64 v[163:164], v[163:164], -0.5, v[46:47]
	v_fma_f64 v[113:114], v[113:114], s[4:5], v[0:1]
	v_add_f64 v[46:47], v[46:47], v[54:55]
	v_fma_f64 v[0:1], v[161:162], s[4:5], v[159:160]
	v_fma_f64 v[159:160], v[161:162], s[6:7], v[159:160]
	v_add_f64 v[44:45], v[44:45], v[50:51]
	v_add_f64 v[110:111], v[110:111], v[58:59]
	v_fma_f64 v[2:3], v[52:53], -0.5, v[2:3]
	v_add_f64 v[48:49], v[48:49], -v[58:59]
	v_fma_f64 v[52:53], v[173:174], s[6:7], v[163:164]
	v_add_f64 v[161:162], v[169:170], v[60:61]
	v_mul_f64 v[58:59], v[0:1], s[6:7]
	v_mul_f64 v[0:1], v[0:1], 0.5
	v_fma_f64 v[54:55], v[173:174], s[4:5], v[163:164]
	v_mul_f64 v[60:61], v[159:160], s[6:7]
	v_mul_f64 v[50:51], v[159:160], -0.5
	v_add_f64 v[56:57], v[46:47], v[56:57]
	v_add_f64 v[62:63], v[44:45], v[62:63]
	v_fma_f64 v[163:164], v[48:49], s[4:5], v[2:3]
	v_fma_f64 v[58:59], v[52:53], 0.5, v[58:59]
	v_fma_f64 v[173:174], v[52:53], s[4:5], v[0:1]
	v_fma_f64 v[169:170], v[48:49], s[6:7], v[2:3]
	v_fma_f64 v[60:61], v[54:55], -0.5, v[60:61]
	v_fma_f64 v[175:176], v[54:55], s[4:5], v[50:51]
	v_add_f64 v[66:67], v[80:81], v[78:79]
	v_add_f64 v[0:1], v[110:111], v[56:57]
	;; [unrolled: 1-line block ×8, first 2 shown]
	v_add_f64 v[78:79], v[80:81], -v[78:79]
	v_add_f64 v[52:53], v[110:111], -v[56:57]
	;; [unrolled: 1-line block ×6, first 2 shown]
	ds_write_b128 v116, v[28:31]
	ds_write_b128 v116, v[24:27] offset:960
	ds_write_b128 v116, v[20:23] offset:1920
	;; [unrolled: 1-line block ×11, first 2 shown]
	v_lshl_add_u32 v16, v85, 4, 0
	v_add_f64 v[60:61], v[113:114], -v[60:61]
	v_add_f64 v[62:63], v[169:170], -v[175:176]
	ds_write_b128 v16, v[12:15] offset:11520
	ds_write_b128 v16, v[117:120] offset:12480
	ds_write_b128 v16, v[121:124] offset:13440
	ds_write_b128 v16, v[125:128] offset:14400
	ds_write_b128 v16, v[129:132] offset:15360
	ds_write_b128 v16, v[133:136] offset:16320
	v_lshl_add_u32 v12, v86, 4, 0
	ds_write_b128 v12, v[8:11] offset:17280
	ds_write_b128 v12, v[137:140] offset:18240
	ds_write_b128 v12, v[141:144] offset:19200
	ds_write_b128 v12, v[145:148] offset:20160
	ds_write_b128 v12, v[149:152] offset:21120
	ds_write_b128 v12, v[153:156] offset:22080
	v_lshl_add_u32 v8, v87, 4, 0
	ds_write_b128 v8, v[4:7] offset:23040
	ds_write_b128 v8, v[64:67] offset:24000
	ds_write_b128 v8, v[68:71] offset:24960
	ds_write_b128 v8, v[72:75] offset:25920
	ds_write_b128 v8, v[76:79] offset:26880
	ds_write_b128 v8, v[157:160] offset:27840
	v_lshl_add_u32 v4, v89, 4, 0
	ds_write_b128 v4, v[0:3] offset:28800
	ds_write_b128 v4, v[44:47] offset:29760
	;; [unrolled: 1-line block ×6, first 2 shown]
	v_add_co_u32_e32 v0, vcc, s24, v83
	v_addc_co_u32_e32 v1, vcc, 0, v84, vcc
	s_waitcnt lgkmcnt(0)
	; wave barrier
	s_waitcnt lgkmcnt(0)
	global_load_dwordx4 v[20:23], v[0:1], off offset:1504
	v_add_co_u32_e32 v2, vcc, s9, v83
	v_addc_co_u32_e32 v3, vcc, 0, v84, vcc
	global_load_dwordx4 v[26:29], v[2:3], off offset:16
	global_load_dwordx4 v[30:33], v[2:3], off offset:32
	;; [unrolled: 1-line block ×4, first 2 shown]
	v_add_u32_e32 v0, 60, v112
	v_mul_u32_u24_e32 v0, 5, v0
	v_lshlrev_b32_e32 v111, 4, v0
	v_add_co_u32_e32 v115, vcc, s8, v111
	v_addc_co_u32_e32 v195, vcc, 0, v82, vcc
	v_add_co_u32_e32 v113, vcc, s24, v115
	v_addc_co_u32_e32 v114, vcc, 0, v195, vcc
	global_load_dwordx4 v[42:45], v[113:114], off offset:1504
	ds_read_b128 v[16:19], v116 offset:960
	ds_read_b128 v[12:15], v116 offset:1920
	;; [unrolled: 1-line block ×26, first 2 shown]
	v_add_co_u32_e32 v173, vcc, s9, v115
	v_addc_co_u32_e32 v174, vcc, 0, v195, vcc
	global_load_dwordx4 v[137:140], v[173:174], off offset:16
	ds_read_b128 v[141:144], v116 offset:11520
	ds_read_b128 v[145:148], v116 offset:10560
	;; [unrolled: 1-line block ×8, first 2 shown]
	v_add_co_u32_e32 v191, vcc, s25, v115
	v_addc_co_u32_e32 v192, vcc, 0, v195, vcc
	v_add_co_u32_e32 v193, vcc, s10, v115
	v_addc_co_u32_e32 v194, vcc, 0, v195, vcc
	s_movk_i32 s10, 0x3b60
	s_waitcnt vmcnt(6) lgkmcnt(9)
	v_mul_f64 v[24:25], v[135:136], v[22:23]
	v_mul_f64 v[175:176], v[133:134], v[22:23]
	s_waitcnt vmcnt(5) lgkmcnt(7)
	v_mul_f64 v[177:178], v[143:144], v[28:29]
	v_mul_f64 v[28:29], v[141:142], v[28:29]
	;; [unrolled: 3-line block ×4, first 2 shown]
	v_fma_f64 v[22:23], v[133:134], v[20:21], v[24:25]
	v_fma_f64 v[20:21], v[135:136], v[20:21], -v[175:176]
	v_fma_f64 v[24:25], v[141:142], v[26:27], v[177:178]
	v_fma_f64 v[26:27], v[143:144], v[26:27], -v[28:29]
	global_load_dwordx4 v[133:136], v[173:174], off offset:48
	global_load_dwordx4 v[141:144], v[173:174], off offset:32
	v_fma_f64 v[28:29], v[149:150], v[30:31], v[179:180]
	v_mul_f64 v[149:150], v[159:160], v[36:37]
	v_mul_f64 v[36:37], v[157:158], v[36:37]
	global_load_dwordx4 v[173:176], v[113:114], off offset:1568
	global_load_dwordx4 v[177:180], v[191:192], off offset:2208
	s_waitcnt vmcnt(5)
	v_mul_f64 v[113:114], v[48:49], v[44:45]
	global_load_dwordx4 v[181:184], v[193:194], off offset:32
	global_load_dwordx4 v[185:188], v[193:194], off offset:16
	v_fma_f64 v[233:234], v[151:152], v[30:31], -v[32:33]
	global_load_dwordx4 v[30:33], v[193:194], off offset:48
	v_fma_f64 v[235:236], v[157:158], v[34:35], v[149:150]
	v_fma_f64 v[237:238], v[159:160], v[34:35], -v[36:37]
	global_load_dwordx4 v[34:37], v[191:192], off offset:2272
	v_fma_f64 v[239:240], v[165:166], v[38:39], v[189:190]
	v_fma_f64 v[241:242], v[167:168], v[38:39], -v[40:41]
	v_fma_f64 v[38:39], v[46:47], v[42:43], v[113:114]
	v_add_co_u32_e32 v113, vcc, s26, v115
	v_addc_co_u32_e32 v114, vcc, 0, v195, vcc
	v_add_co_u32_e32 v165, vcc, s10, v115
	v_mul_f64 v[40:41], v[46:47], v[44:45]
	global_load_dwordx4 v[44:47], v[113:114], off offset:2912
	v_addc_co_u32_e32 v166, vcc, 0, v195, vcc
	global_load_dwordx4 v[149:152], v[165:166], off offset:16
	global_load_dwordx4 v[157:160], v[165:166], off offset:48
	s_nop 0
	global_load_dwordx4 v[165:168], v[165:166], off offset:32
	s_nop 0
	global_load_dwordx4 v[189:192], v[113:114], off offset:2976
	v_add_u32_e32 v113, 0x3840, v111
	v_add_co_u32_e32 v115, vcc, s8, v113
	v_addc_co_u32_e32 v197, vcc, 0, v82, vcc
	v_add_co_u32_e32 v113, vcc, s24, v115
	v_addc_co_u32_e32 v114, vcc, 0, v197, vcc
	global_load_dwordx4 v[193:196], v[113:114], off offset:1504
	v_add_co_u32_e32 v205, vcc, s9, v115
	v_addc_co_u32_e32 v206, vcc, 0, v197, vcc
	global_load_dwordx4 v[197:200], v[205:206], off offset:32
	global_load_dwordx4 v[201:204], v[205:206], off offset:16
	v_add_u32_e32 v111, 0x4b00, v111
	v_add_co_u32_e32 v111, vcc, s8, v111
	v_addc_co_u32_e32 v82, vcc, 0, v82, vcc
	v_fma_f64 v[243:244], v[48:49], v[42:43], -v[40:41]
	global_load_dwordx4 v[40:43], v[205:206], off offset:48
	s_nop 0
	global_load_dwordx4 v[205:208], v[113:114], off offset:1568
	v_add_co_u32_e32 v113, vcc, s24, v111
	v_addc_co_u32_e32 v114, vcc, 0, v82, vcc
	global_load_dwordx4 v[209:212], v[113:114], off offset:1504
	v_add_co_u32_e32 v221, vcc, s9, v111
	v_addc_co_u32_e32 v222, vcc, 0, v82, vcc
	global_load_dwordx4 v[213:216], v[221:222], off offset:16
	s_waitcnt vmcnt(20)
	v_mul_f64 v[48:49], v[56:57], v[139:140]
	v_mul_f64 v[139:140], v[54:55], v[139:140]
	global_load_dwordx4 v[217:220], v[221:222], off offset:48
	s_nop 0
	global_load_dwordx4 v[221:224], v[221:222], off offset:32
	ds_read_b128 v[225:228], v116
	ds_read_b128 v[229:232], v116 offset:33600
	v_fma_f64 v[247:248], v[54:55], v[137:138], v[48:49]
	v_fma_f64 v[139:140], v[56:57], v[137:138], -v[139:140]
	s_waitcnt vmcnt(21)
	v_mul_f64 v[48:49], v[72:73], v[135:136]
	v_mul_f64 v[54:55], v[70:71], v[135:136]
	global_load_dwordx4 v[135:138], v[113:114], off offset:1568
	s_waitcnt vmcnt(21)
	v_mul_f64 v[245:246], v[64:65], v[143:144]
	v_mul_f64 v[143:144], v[62:63], v[143:144]
	s_waitcnt vmcnt(20)
	v_mul_f64 v[56:57], v[80:81], v[175:176]
	s_waitcnt lgkmcnt(0)
	; wave barrier
	s_waitcnt lgkmcnt(0)
	v_fma_f64 v[113:114], v[70:71], v[133:134], v[48:49]
	s_waitcnt vmcnt(19)
	v_mul_f64 v[48:49], v[50:51], v[179:180]
	v_fma_f64 v[133:134], v[72:73], v[133:134], -v[54:55]
	v_fma_f64 v[245:246], v[62:63], v[141:142], v[245:246]
	v_fma_f64 v[141:142], v[64:65], v[141:142], -v[143:144]
	v_mul_f64 v[64:65], v[52:53], v[179:180]
	v_mul_f64 v[62:63], v[78:79], v[175:176]
	v_fma_f64 v[143:144], v[78:79], v[173:174], v[56:57]
	s_waitcnt vmcnt(17)
	v_mul_f64 v[54:55], v[60:61], v[187:188]
	v_mul_f64 v[56:57], v[58:59], v[187:188]
	v_fma_f64 v[175:176], v[50:51], v[177:178], v[64:65]
	v_fma_f64 v[177:178], v[52:53], v[177:178], -v[48:49]
	s_waitcnt vmcnt(16)
	v_mul_f64 v[48:49], v[76:77], v[32:33]
	v_mul_f64 v[32:33], v[74:75], v[32:33]
	s_waitcnt vmcnt(15)
	v_mul_f64 v[52:53], v[85:86], v[36:37]
	v_mul_f64 v[36:37], v[83:84], v[36:37]
	v_fma_f64 v[173:174], v[80:81], v[173:174], -v[62:63]
	v_mul_f64 v[50:51], v[68:69], v[183:184]
	v_mul_f64 v[62:63], v[66:67], v[183:184]
	v_fma_f64 v[179:180], v[58:59], v[185:186], v[54:55]
	v_fma_f64 v[187:188], v[74:75], v[30:31], v[48:49]
	s_waitcnt vmcnt(14)
	v_mul_f64 v[48:49], v[89:90], v[46:47]
	v_mul_f64 v[46:47], v[87:88], v[46:47]
	v_fma_f64 v[249:250], v[76:77], v[30:31], -v[32:33]
	v_fma_f64 v[251:252], v[83:84], v[34:35], v[52:53]
	s_waitcnt vmcnt(13)
	v_mul_f64 v[30:31], v[97:98], v[151:152]
	v_mul_f64 v[32:33], v[95:96], v[151:152]
	v_fma_f64 v[151:152], v[85:86], v[34:35], -v[36:37]
	s_waitcnt vmcnt(11)
	v_mul_f64 v[34:35], v[105:106], v[167:168]
	v_mul_f64 v[36:37], v[103:104], v[167:168]
	v_fma_f64 v[253:254], v[87:88], v[44:45], v[48:49]
	v_fma_f64 v[44:45], v[89:90], v[44:45], -v[46:47]
	v_mul_f64 v[46:47], v[119:120], v[159:160]
	v_fma_f64 v[167:168], v[95:96], v[149:150], v[30:31]
	v_fma_f64 v[149:150], v[97:98], v[149:150], -v[32:33]
	v_mul_f64 v[30:31], v[117:118], v[159:160]
	v_fma_f64 v[159:160], v[103:104], v[165:166], v[34:35]
	s_waitcnt vmcnt(10)
	v_mul_f64 v[32:33], v[127:128], v[191:192]
	v_mul_f64 v[34:35], v[125:126], v[191:192]
	v_fma_f64 v[165:166], v[105:106], v[165:166], -v[36:37]
	s_waitcnt vmcnt(9)
	v_mul_f64 v[36:37], v[93:94], v[195:196]
	v_fma_f64 v[191:192], v[117:118], v[157:158], v[46:47]
	v_mul_f64 v[46:47], v[91:92], v[195:196]
	v_fma_f64 v[157:158], v[119:120], v[157:158], -v[30:31]
	s_waitcnt vmcnt(7)
	v_mul_f64 v[30:31], v[101:102], v[203:204]
	v_fma_f64 v[195:196], v[125:126], v[189:190], v[32:33]
	v_fma_f64 v[127:128], v[127:128], v[189:190], -v[34:35]
	v_mul_f64 v[32:33], v[99:100], v[203:204]
	v_mul_f64 v[34:35], v[109:110], v[199:200]
	v_fma_f64 v[72:73], v[91:92], v[193:194], v[36:37]
	v_mul_f64 v[36:37], v[107:108], v[199:200]
	v_fma_f64 v[183:184], v[60:61], v[185:186], -v[56:57]
	v_fma_f64 v[76:77], v[99:100], v[201:202], v[30:31]
	s_waitcnt vmcnt(6)
	v_mul_f64 v[30:31], v[123:124], v[42:43]
	v_mul_f64 v[42:43], v[121:122], v[42:43]
	v_fma_f64 v[80:81], v[101:102], v[201:202], -v[32:33]
	v_fma_f64 v[78:79], v[107:108], v[197:198], v[34:35]
	s_waitcnt vmcnt(5)
	v_mul_f64 v[32:33], v[131:132], v[207:208]
	v_mul_f64 v[34:35], v[129:130], v[207:208]
	v_fma_f64 v[70:71], v[109:110], v[197:198], -v[36:37]
	s_waitcnt vmcnt(4)
	v_mul_f64 v[36:37], v[147:148], v[211:212]
	v_fma_f64 v[185:186], v[66:67], v[181:182], v[50:51]
	v_fma_f64 v[181:182], v[68:69], v[181:182], -v[62:63]
	v_fma_f64 v[68:69], v[93:94], v[193:194], -v[46:47]
	v_fma_f64 v[189:190], v[121:122], v[40:41], v[30:31]
	v_fma_f64 v[74:75], v[123:124], v[40:41], -v[42:43]
	v_mul_f64 v[30:31], v[145:146], v[211:212]
	s_waitcnt vmcnt(3)
	v_mul_f64 v[40:41], v[155:156], v[215:216]
	v_fma_f64 v[66:67], v[129:130], v[205:206], v[32:33]
	v_fma_f64 v[64:65], v[131:132], v[205:206], -v[34:35]
	v_mul_f64 v[32:33], v[153:154], v[215:216]
	v_fma_f64 v[46:47], v[145:146], v[209:210], v[36:37]
	s_waitcnt vmcnt(1)
	v_mul_f64 v[34:35], v[163:164], v[223:224]
	v_mul_f64 v[36:37], v[161:162], v[223:224]
	v_fma_f64 v[110:111], v[147:148], v[209:210], -v[30:31]
	v_fma_f64 v[48:49], v[153:154], v[213:214], v[40:41]
	v_mul_f64 v[30:31], v[171:172], v[219:220]
	v_mul_f64 v[40:41], v[169:170], v[219:220]
	v_fma_f64 v[52:53], v[155:156], v[213:214], -v[32:33]
	v_add_f64 v[32:33], v[24:25], v[235:236]
	v_fma_f64 v[54:55], v[161:162], v[221:222], v[34:35]
	v_fma_f64 v[50:51], v[163:164], v[221:222], -v[36:37]
	s_waitcnt vmcnt(0)
	v_mul_f64 v[34:35], v[231:232], v[137:138]
	v_add_f64 v[36:37], v[233:234], v[241:242]
	v_fma_f64 v[58:59], v[169:170], v[217:218], v[30:31]
	v_fma_f64 v[60:61], v[171:172], v[217:218], -v[40:41]
	v_add_f64 v[30:31], v[225:226], v[24:25]
	v_fma_f64 v[32:33], v[32:33], -0.5, v[225:226]
	v_add_f64 v[40:41], v[26:27], -v[237:238]
	v_add_f64 v[42:43], v[28:29], v[239:240]
	v_fma_f64 v[56:57], v[229:230], v[135:136], v[34:35]
	v_fma_f64 v[34:35], v[36:37], -0.5, v[20:21]
	v_add_f64 v[36:37], v[28:29], -v[239:240]
	v_add_f64 v[86:87], v[233:234], -v[241:242]
	v_add_f64 v[82:83], v[30:31], v[235:236]
	v_add_f64 v[30:31], v[26:27], v[237:238]
	v_fma_f64 v[84:85], v[40:41], s[6:7], v[32:33]
	v_fma_f64 v[42:43], v[42:43], -0.5, v[22:23]
	v_fma_f64 v[88:89], v[40:41], s[4:5], v[32:33]
	v_add_f64 v[26:27], v[227:228], v[26:27]
	v_fma_f64 v[32:33], v[36:37], s[4:5], v[34:35]
	v_fma_f64 v[34:35], v[36:37], s[6:7], v[34:35]
	v_add_f64 v[22:23], v[22:23], v[28:29]
	v_add_f64 v[20:21], v[20:21], v[233:234]
	v_fma_f64 v[30:31], v[30:31], -0.5, v[227:228]
	v_fma_f64 v[28:29], v[86:87], s[6:7], v[42:43]
	v_fma_f64 v[36:37], v[86:87], s[4:5], v[42:43]
	v_add_f64 v[86:87], v[26:27], v[237:238]
	v_mul_f64 v[40:41], v[32:33], s[6:7]
	v_mul_f64 v[42:43], v[34:35], s[6:7]
	v_mul_f64 v[26:27], v[32:33], 0.5
	v_mul_f64 v[32:33], v[34:35], -0.5
	v_add_f64 v[34:35], v[22:23], v[239:240]
	v_add_f64 v[24:25], v[24:25], -v[235:236]
	v_add_f64 v[92:93], v[20:21], v[241:242]
	v_add_f64 v[100:101], v[247:248], v[113:114]
	v_fma_f64 v[40:41], v[28:29], 0.5, v[40:41]
	v_fma_f64 v[42:43], v[36:37], -0.5, v[42:43]
	v_fma_f64 v[96:97], v[28:29], s[4:5], v[26:27]
	v_fma_f64 v[98:99], v[36:37], s[4:5], v[32:33]
	v_add_f64 v[28:29], v[82:83], v[34:35]
	v_add_f64 v[32:33], v[82:83], -v[34:35]
	v_add_f64 v[82:83], v[141:142], v[173:174]
	v_fma_f64 v[90:91], v[24:25], s[4:5], v[30:31]
	v_fma_f64 v[94:95], v[24:25], s[6:7], v[30:31]
	v_add_f64 v[24:25], v[84:85], v[40:41]
	v_add_f64 v[20:21], v[88:89], v[42:43]
	;; [unrolled: 1-line block ×3, first 2 shown]
	v_add_f64 v[40:41], v[84:85], -v[40:41]
	v_add_f64 v[36:37], v[88:89], -v[42:43]
	v_add_f64 v[84:85], v[16:17], v[247:248]
	v_fma_f64 v[16:17], v[100:101], -0.5, v[16:17]
	v_add_f64 v[88:89], v[139:140], -v[133:134]
	v_add_f64 v[100:101], v[245:246], v[143:144]
	v_add_f64 v[34:35], v[86:87], -v[92:93]
	v_fma_f64 v[82:83], v[82:83], -0.5, v[243:244]
	v_add_f64 v[86:87], v[245:246], -v[143:144]
	v_add_f64 v[26:27], v[90:91], v[96:97]
	v_add_f64 v[42:43], v[90:91], -v[96:97]
	v_add_f64 v[90:91], v[84:85], v[113:114]
	v_fma_f64 v[92:93], v[88:89], s[6:7], v[16:17]
	v_fma_f64 v[96:97], v[100:101], -0.5, v[38:39]
	v_add_f64 v[100:101], v[141:142], -v[173:174]
	v_fma_f64 v[102:103], v[88:89], s[4:5], v[16:17]
	v_fma_f64 v[16:17], v[86:87], s[4:5], v[82:83]
	;; [unrolled: 1-line block ×3, first 2 shown]
	v_add_f64 v[38:39], v[38:39], v[245:246]
	v_add_f64 v[84:85], v[139:140], v[133:134]
	;; [unrolled: 1-line block ×4, first 2 shown]
	v_fma_f64 v[88:89], v[100:101], s[6:7], v[96:97]
	v_fma_f64 v[96:97], v[100:101], s[4:5], v[96:97]
	v_mul_f64 v[100:101], v[16:17], s[6:7]
	v_mul_f64 v[104:105], v[82:83], s[6:7]
	v_mul_f64 v[82:83], v[82:83], -0.5
	v_add_f64 v[117:118], v[38:39], v[143:144]
	v_fma_f64 v[18:19], v[84:85], -0.5, v[18:19]
	v_add_f64 v[84:85], v[247:248], -v[113:114]
	v_add_f64 v[108:109], v[86:87], v[133:134]
	v_mul_f64 v[16:17], v[16:17], 0.5
	v_fma_f64 v[100:101], v[88:89], 0.5, v[100:101]
	v_fma_f64 v[104:105], v[96:97], -0.5, v[104:105]
	v_add_f64 v[106:107], v[106:107], v[173:174]
	v_fma_f64 v[123:124], v[96:97], s[4:5], v[82:83]
	v_add_f64 v[82:83], v[90:91], v[117:118]
	v_add_f64 v[96:97], v[179:180], v[187:188]
	v_add_f64 v[90:91], v[90:91], -v[117:118]
	v_add_f64 v[117:118], v[181:182], v[151:152]
	v_add_f64 v[22:23], v[94:95], v[98:99]
	v_fma_f64 v[113:114], v[84:85], s[4:5], v[18:19]
	v_fma_f64 v[119:120], v[84:85], s[6:7], v[18:19]
	;; [unrolled: 1-line block ×3, first 2 shown]
	v_add_f64 v[38:39], v[94:95], -v[98:99]
	v_add_f64 v[86:87], v[92:93], v[100:101]
	v_add_f64 v[16:17], v[102:103], v[104:105]
	;; [unrolled: 1-line block ×3, first 2 shown]
	v_add_f64 v[94:95], v[92:93], -v[100:101]
	v_add_f64 v[98:99], v[102:103], -v[104:105]
	v_add_f64 v[100:101], v[12:13], v[179:180]
	v_fma_f64 v[12:13], v[96:97], -0.5, v[12:13]
	v_add_f64 v[102:103], v[183:184], -v[249:250]
	v_add_f64 v[104:105], v[185:186], v[251:252]
	v_add_f64 v[92:93], v[108:109], -v[106:107]
	v_fma_f64 v[106:107], v[117:118], -0.5, v[177:178]
	v_add_f64 v[108:109], v[185:186], -v[251:252]
	v_add_f64 v[88:89], v[113:114], v[121:122]
	v_add_f64 v[96:97], v[113:114], -v[121:122]
	v_add_f64 v[113:114], v[100:101], v[187:188]
	v_add_f64 v[100:101], v[183:184], v[249:250]
	v_fma_f64 v[121:122], v[102:103], s[6:7], v[12:13]
	v_fma_f64 v[104:105], v[104:105], -0.5, v[175:176]
	v_add_f64 v[117:118], v[181:182], -v[151:152]
	v_fma_f64 v[125:126], v[102:103], s[4:5], v[12:13]
	v_fma_f64 v[12:13], v[108:109], s[4:5], v[106:107]
	;; [unrolled: 1-line block ×3, first 2 shown]
	v_add_f64 v[108:109], v[175:176], v[185:186]
	v_mul_f64 v[62:63], v[229:230], v[137:138]
	v_add_f64 v[106:107], v[14:15], v[183:184]
	v_fma_f64 v[14:15], v[100:101], -0.5, v[14:15]
	v_add_f64 v[100:101], v[179:180], -v[187:188]
	v_fma_f64 v[129:130], v[117:118], s[6:7], v[104:105]
	v_fma_f64 v[104:105], v[117:118], s[4:5], v[104:105]
	v_mul_f64 v[117:118], v[12:13], s[6:7]
	v_mul_f64 v[131:132], v[102:103], s[6:7]
	v_add_f64 v[133:134], v[177:178], v[181:182]
	v_mul_f64 v[12:13], v[12:13], 0.5
	v_add_f64 v[139:140], v[108:109], v[251:252]
	v_fma_f64 v[62:63], v[231:232], v[135:136], -v[62:63]
	v_add_f64 v[18:19], v[119:120], v[123:124]
	v_add_f64 v[135:136], v[106:107], v[249:250]
	v_mul_f64 v[102:103], v[102:103], -0.5
	v_fma_f64 v[137:138], v[100:101], s[4:5], v[14:15]
	v_fma_f64 v[141:142], v[129:130], 0.5, v[117:118]
	v_fma_f64 v[131:132], v[104:105], -0.5, v[131:132]
	v_add_f64 v[133:134], v[133:134], v[151:152]
	v_fma_f64 v[143:144], v[100:101], s[6:7], v[14:15]
	v_fma_f64 v[129:130], v[129:130], s[4:5], v[12:13]
	v_add_f64 v[100:101], v[119:120], -v[123:124]
	v_add_f64 v[12:13], v[113:114], v[139:140]
	v_add_f64 v[119:120], v[167:168], v[191:192]
	v_add_f64 v[117:118], v[113:114], -v[139:140]
	v_add_f64 v[113:114], v[165:166], v[127:128]
	v_fma_f64 v[145:146], v[104:105], s[4:5], v[102:103]
	v_add_f64 v[102:103], v[121:122], v[141:142]
	v_add_f64 v[106:107], v[125:126], v[131:132]
	;; [unrolled: 1-line block ×3, first 2 shown]
	v_add_f64 v[121:122], v[121:122], -v[141:142]
	v_add_f64 v[125:126], v[125:126], -v[131:132]
	v_add_f64 v[131:132], v[8:9], v[167:168]
	v_fma_f64 v[8:9], v[119:120], -0.5, v[8:9]
	v_add_f64 v[139:140], v[149:150], -v[157:158]
	v_add_f64 v[141:142], v[159:160], v[195:196]
	v_add_f64 v[119:120], v[135:136], -v[133:134]
	v_fma_f64 v[113:114], v[113:114], -0.5, v[44:45]
	v_add_f64 v[133:134], v[159:160], -v[195:196]
	v_add_f64 v[104:105], v[137:138], v[129:130]
	v_add_f64 v[123:124], v[137:138], -v[129:130]
	v_add_f64 v[137:138], v[131:132], v[191:192]
	v_fma_f64 v[147:148], v[139:140], s[6:7], v[8:9]
	v_fma_f64 v[131:132], v[141:142], -0.5, v[253:254]
	v_add_f64 v[135:136], v[165:166], -v[127:128]
	v_fma_f64 v[139:140], v[139:140], s[4:5], v[8:9]
	v_fma_f64 v[8:9], v[133:134], s[4:5], v[113:114]
	;; [unrolled: 1-line block ×3, first 2 shown]
	v_add_f64 v[129:130], v[149:150], v[157:158]
	v_add_f64 v[133:134], v[10:11], v[149:150]
	;; [unrolled: 1-line block ×4, first 2 shown]
	v_fma_f64 v[149:150], v[135:136], s[6:7], v[131:132]
	v_fma_f64 v[131:132], v[135:136], s[4:5], v[131:132]
	v_mul_f64 v[135:136], v[8:9], s[6:7]
	v_mul_f64 v[151:152], v[113:114], s[6:7]
	v_add_f64 v[108:109], v[143:144], v[145:146]
	v_fma_f64 v[10:11], v[129:130], -0.5, v[10:11]
	v_add_f64 v[129:130], v[167:168], -v[191:192]
	v_add_f64 v[153:154], v[133:134], v[157:158]
	v_mul_f64 v[8:9], v[8:9], 0.5
	v_add_f64 v[141:142], v[141:142], v[195:196]
	v_fma_f64 v[157:158], v[149:150], 0.5, v[135:136]
	v_fma_f64 v[151:152], v[131:132], -0.5, v[151:152]
	v_add_f64 v[44:45], v[44:45], v[127:128]
	v_add_f64 v[127:128], v[143:144], -v[145:146]
	v_add_f64 v[143:144], v[76:77], v[189:190]
	v_add_f64 v[161:162], v[70:71], v[64:65]
	v_mul_f64 v[113:114], v[113:114], -0.5
	v_fma_f64 v[155:156], v[129:130], s[4:5], v[10:11]
	v_fma_f64 v[159:160], v[129:130], s[6:7], v[10:11]
	v_fma_f64 v[149:150], v[149:150], s[4:5], v[8:9]
	v_add_f64 v[8:9], v[137:138], v[141:142]
	v_add_f64 v[129:130], v[147:148], v[157:158]
	;; [unrolled: 1-line block ×4, first 2 shown]
	v_add_f64 v[137:138], v[137:138], -v[141:142]
	v_add_f64 v[141:142], v[147:148], -v[157:158]
	;; [unrolled: 1-line block ×3, first 2 shown]
	v_add_f64 v[147:148], v[4:5], v[76:77]
	v_fma_f64 v[4:5], v[143:144], -0.5, v[4:5]
	v_add_f64 v[151:152], v[80:81], -v[74:75]
	v_add_f64 v[157:158], v[78:79], v[66:67]
	v_add_f64 v[139:140], v[153:154], -v[44:45]
	v_fma_f64 v[44:45], v[161:162], -0.5, v[68:69]
	v_add_f64 v[153:154], v[78:79], -v[66:67]
	v_fma_f64 v[113:114], v[131:132], s[4:5], v[113:114]
	v_add_f64 v[131:132], v[155:156], v[149:150]
	v_add_f64 v[143:144], v[155:156], -v[149:150]
	v_add_f64 v[149:150], v[147:148], v[189:190]
	v_add_f64 v[147:148], v[80:81], v[74:75]
	v_fma_f64 v[155:156], v[151:152], s[6:7], v[4:5]
	v_fma_f64 v[157:158], v[157:158], -0.5, v[72:73]
	v_add_f64 v[161:162], v[70:71], -v[64:65]
	v_fma_f64 v[151:152], v[151:152], s[4:5], v[4:5]
	v_fma_f64 v[4:5], v[153:154], s[4:5], v[44:45]
	;; [unrolled: 1-line block ×3, first 2 shown]
	v_add_f64 v[80:81], v[6:7], v[80:81]
	v_fma_f64 v[6:7], v[147:148], -0.5, v[6:7]
	v_add_f64 v[72:73], v[72:73], v[78:79]
	v_add_f64 v[135:136], v[159:160], v[113:114]
	v_fma_f64 v[78:79], v[161:162], s[6:7], v[157:158]
	v_fma_f64 v[147:148], v[161:162], s[4:5], v[157:158]
	v_mul_f64 v[153:154], v[4:5], s[6:7]
	v_mul_f64 v[157:158], v[44:45], s[6:7]
	v_mul_f64 v[44:45], v[44:45], -0.5
	v_add_f64 v[76:77], v[76:77], -v[189:190]
	v_add_f64 v[68:69], v[68:69], v[70:71]
	v_mul_f64 v[4:5], v[4:5], 0.5
	v_add_f64 v[72:73], v[72:73], v[66:67]
	v_add_f64 v[74:75], v[80:81], v[74:75]
	v_fma_f64 v[153:154], v[78:79], 0.5, v[153:154]
	v_fma_f64 v[157:158], v[147:148], -0.5, v[157:158]
	v_fma_f64 v[44:45], v[147:148], s[4:5], v[44:45]
	v_add_f64 v[147:148], v[159:160], -v[113:114]
	v_add_f64 v[113:114], v[48:49], v[58:59]
	v_add_f64 v[159:160], v[50:51], v[62:63]
	v_fma_f64 v[80:81], v[76:77], s[4:5], v[6:7]
	v_add_f64 v[161:162], v[68:69], v[64:65]
	v_fma_f64 v[163:164], v[76:77], s[6:7], v[6:7]
	v_fma_f64 v[78:79], v[78:79], s[4:5], v[4:5]
	v_add_f64 v[4:5], v[149:150], v[72:73]
	v_add_f64 v[64:65], v[155:156], v[153:154]
	v_add_f64 v[68:69], v[151:152], v[157:158]
	v_add_f64 v[72:73], v[149:150], -v[72:73]
	v_add_f64 v[76:77], v[155:156], -v[153:154]
	v_add_f64 v[153:154], v[0:1], v[48:49]
	v_add_f64 v[149:150], v[151:152], -v[157:158]
	v_fma_f64 v[0:1], v[113:114], -0.5, v[0:1]
	v_add_f64 v[113:114], v[52:53], -v[60:61]
	v_add_f64 v[151:152], v[54:55], v[56:57]
	v_fma_f64 v[155:156], v[159:160], -0.5, v[110:111]
	v_add_f64 v[157:158], v[54:55], -v[56:57]
	v_add_f64 v[6:7], v[74:75], v[161:162]
	v_add_f64 v[74:75], v[74:75], -v[161:162]
	v_add_f64 v[159:160], v[2:3], v[52:53]
	v_add_f64 v[52:53], v[52:53], v[60:61]
	v_fma_f64 v[161:162], v[113:114], s[6:7], v[0:1]
	v_fma_f64 v[151:152], v[151:152], -0.5, v[46:47]
	v_add_f64 v[165:166], v[50:51], -v[62:63]
	v_fma_f64 v[113:114], v[113:114], s[4:5], v[0:1]
	v_fma_f64 v[0:1], v[157:158], s[4:5], v[155:156]
	;; [unrolled: 1-line block ×3, first 2 shown]
	v_add_f64 v[153:154], v[153:154], v[58:59]
	v_add_f64 v[157:158], v[159:160], v[60:61]
	v_fma_f64 v[2:3], v[52:53], -0.5, v[2:3]
	v_add_f64 v[48:49], v[48:49], -v[58:59]
	v_add_f64 v[46:47], v[46:47], v[54:55]
	v_fma_f64 v[52:53], v[165:166], s[6:7], v[151:152]
	v_fma_f64 v[54:55], v[165:166], s[4:5], v[151:152]
	v_mul_f64 v[58:59], v[0:1], s[6:7]
	v_mul_f64 v[60:61], v[155:156], s[6:7]
	v_add_f64 v[50:51], v[110:111], v[50:51]
	v_mul_f64 v[0:1], v[0:1], 0.5
	v_mul_f64 v[110:111], v[155:156], -0.5
	v_fma_f64 v[155:156], v[48:49], s[4:5], v[2:3]
	v_fma_f64 v[159:160], v[48:49], s[6:7], v[2:3]
	v_add_f64 v[56:57], v[46:47], v[56:57]
	v_fma_f64 v[58:59], v[52:53], 0.5, v[58:59]
	v_fma_f64 v[60:61], v[54:55], -0.5, v[60:61]
	v_add_f64 v[62:63], v[50:51], v[62:63]
	v_fma_f64 v[165:166], v[52:53], s[4:5], v[0:1]
	v_fma_f64 v[110:111], v[54:55], s[4:5], v[110:111]
	v_add_f64 v[66:67], v[80:81], v[78:79]
	v_add_f64 v[70:71], v[163:164], v[44:45]
	v_add_f64 v[78:79], v[80:81], -v[78:79]
	v_add_f64 v[151:152], v[163:164], -v[44:45]
	v_add_f64 v[0:1], v[153:154], v[56:57]
	v_add_f64 v[44:45], v[161:162], v[58:59]
	;; [unrolled: 1-line block ×6, first 2 shown]
	v_add_f64 v[52:53], v[153:154], -v[56:57]
	v_add_f64 v[56:57], v[161:162], -v[58:59]
	;; [unrolled: 1-line block ×6, first 2 shown]
	ds_write_b128 v116, v[28:31]
	ds_write_b128 v116, v[24:27] offset:5760
	ds_write_b128 v116, v[20:23] offset:11520
	;; [unrolled: 1-line block ×35, first 2 shown]
	s_waitcnt lgkmcnt(0)
	; wave barrier
	s_waitcnt lgkmcnt(0)
	s_and_saveexec_b64 s[4:5], s[0:1]
	s_cbranch_execz .LBB0_21
; %bb.20:
	v_lshl_add_u32 v2, v112, 4, 0
	ds_read_b128 v[3:6], v2
	buffer_load_dword v7, off, s[28:31], 0  ; 4-byte Folded Reload
	buffer_load_dword v8, off, s[28:31], 0 offset:4 ; 4-byte Folded Reload
	v_mov_b32_e32 v113, 0
	v_mov_b32_e32 v1, s3
	s_waitcnt vmcnt(1)
	v_add_co_u32_e32 v0, vcc, s2, v7
	s_waitcnt vmcnt(0)
	v_addc_co_u32_e32 v1, vcc, v1, v8, vcc
	v_lshlrev_b64 v[7:8], 4, v[112:113]
	v_add_co_u32_e32 v11, vcc, v0, v7
	v_addc_co_u32_e32 v12, vcc, v1, v8, vcc
	ds_read_b128 v[7:10], v2 offset:33600
	s_waitcnt lgkmcnt(1)
	global_store_dwordx4 v[11:12], v[3:6], off
	ds_read_b128 v[3:6], v2 offset:960
	v_add_u32_e32 v11, 60, v112
	v_mov_b32_e32 v12, v113
	v_lshlrev_b64 v[11:12], 4, v[11:12]
	v_add_co_u32_e32 v15, vcc, v0, v11
	v_addc_co_u32_e32 v16, vcc, v1, v12, vcc
	ds_read_b128 v[11:14], v2 offset:1920
	s_waitcnt lgkmcnt(1)
	global_store_dwordx4 v[15:16], v[3:6], off
	s_nop 0
	v_add_u32_e32 v3, 0x78, v112
	v_mov_b32_e32 v4, v113
	v_lshlrev_b64 v[3:4], 4, v[3:4]
	v_add_co_u32_e32 v3, vcc, v0, v3
	v_addc_co_u32_e32 v4, vcc, v1, v4, vcc
	s_waitcnt lgkmcnt(0)
	global_store_dwordx4 v[3:4], v[11:14], off
	ds_read_b128 v[3:6], v2 offset:2880
	v_add_u32_e32 v11, 0xb4, v112
	v_mov_b32_e32 v12, v113
	v_lshlrev_b64 v[11:12], 4, v[11:12]
	v_add_co_u32_e32 v15, vcc, v0, v11
	v_addc_co_u32_e32 v16, vcc, v1, v12, vcc
	ds_read_b128 v[11:14], v2 offset:3840
	s_waitcnt lgkmcnt(1)
	global_store_dwordx4 v[15:16], v[3:6], off
	s_nop 0
	v_add_u32_e32 v3, 0xf0, v112
	v_mov_b32_e32 v4, v113
	v_lshlrev_b64 v[3:4], 4, v[3:4]
	v_add_co_u32_e32 v3, vcc, v0, v3
	v_addc_co_u32_e32 v4, vcc, v1, v4, vcc
	;; [unrolled: 17-line block ×16, first 2 shown]
	s_waitcnt lgkmcnt(0)
	global_store_dwordx4 v[3:4], v[11:14], off
	ds_read_b128 v[3:6], v2 offset:31680
	v_add_u32_e32 v11, 0x7bc, v112
	v_mov_b32_e32 v12, v113
	v_lshlrev_b64 v[11:12], 4, v[11:12]
	v_add_co_u32_e32 v15, vcc, v0, v11
	v_addc_co_u32_e32 v16, vcc, v1, v12, vcc
	ds_read_b128 v[11:14], v2 offset:32640
	s_waitcnt lgkmcnt(1)
	global_store_dwordx4 v[15:16], v[3:6], off
	v_add_u32_e32 v2, 0x7f8, v112
	v_mov_b32_e32 v3, v113
	v_lshlrev_b64 v[2:3], 4, v[2:3]
	v_add_u32_e32 v112, 0x834, v112
	v_add_co_u32_e32 v2, vcc, v0, v2
	v_addc_co_u32_e32 v3, vcc, v1, v3, vcc
	s_waitcnt lgkmcnt(0)
	global_store_dwordx4 v[2:3], v[11:14], off
	v_lshlrev_b64 v[2:3], 4, v[112:113]
	v_add_co_u32_e32 v0, vcc, v0, v2
	v_addc_co_u32_e32 v1, vcc, v1, v3, vcc
	global_store_dwordx4 v[0:1], v[7:10], off
.LBB0_21:
	s_endpgm
	.section	.rodata,"a",@progbits
	.p2align	6, 0x0
	.amdhsa_kernel fft_rtc_back_len2160_factors_10_6_6_6_wgs_60_tpt_60_halfLds_dp_ip_CI_unitstride_sbrr_C2R_dirReg
		.amdhsa_group_segment_fixed_size 0
		.amdhsa_private_segment_fixed_size 12
		.amdhsa_kernarg_size 88
		.amdhsa_user_sgpr_count 6
		.amdhsa_user_sgpr_private_segment_buffer 1
		.amdhsa_user_sgpr_dispatch_ptr 0
		.amdhsa_user_sgpr_queue_ptr 0
		.amdhsa_user_sgpr_kernarg_segment_ptr 1
		.amdhsa_user_sgpr_dispatch_id 0
		.amdhsa_user_sgpr_flat_scratch_init 0
		.amdhsa_user_sgpr_private_segment_size 0
		.amdhsa_uses_dynamic_stack 0
		.amdhsa_system_sgpr_private_segment_wavefront_offset 1
		.amdhsa_system_sgpr_workgroup_id_x 1
		.amdhsa_system_sgpr_workgroup_id_y 0
		.amdhsa_system_sgpr_workgroup_id_z 0
		.amdhsa_system_sgpr_workgroup_info 0
		.amdhsa_system_vgpr_workitem_id 0
		.amdhsa_next_free_vgpr 256
		.amdhsa_next_free_sgpr 32
		.amdhsa_reserve_vcc 1
		.amdhsa_reserve_flat_scratch 0
		.amdhsa_float_round_mode_32 0
		.amdhsa_float_round_mode_16_64 0
		.amdhsa_float_denorm_mode_32 3
		.amdhsa_float_denorm_mode_16_64 3
		.amdhsa_dx10_clamp 1
		.amdhsa_ieee_mode 1
		.amdhsa_fp16_overflow 0
		.amdhsa_exception_fp_ieee_invalid_op 0
		.amdhsa_exception_fp_denorm_src 0
		.amdhsa_exception_fp_ieee_div_zero 0
		.amdhsa_exception_fp_ieee_overflow 0
		.amdhsa_exception_fp_ieee_underflow 0
		.amdhsa_exception_fp_ieee_inexact 0
		.amdhsa_exception_int_div_zero 0
	.end_amdhsa_kernel
	.text
.Lfunc_end0:
	.size	fft_rtc_back_len2160_factors_10_6_6_6_wgs_60_tpt_60_halfLds_dp_ip_CI_unitstride_sbrr_C2R_dirReg, .Lfunc_end0-fft_rtc_back_len2160_factors_10_6_6_6_wgs_60_tpt_60_halfLds_dp_ip_CI_unitstride_sbrr_C2R_dirReg
                                        ; -- End function
	.section	.AMDGPU.csdata,"",@progbits
; Kernel info:
; codeLenInByte = 25764
; NumSgprs: 36
; NumVgprs: 256
; ScratchSize: 12
; MemoryBound: 0
; FloatMode: 240
; IeeeMode: 1
; LDSByteSize: 0 bytes/workgroup (compile time only)
; SGPRBlocks: 4
; VGPRBlocks: 63
; NumSGPRsForWavesPerEU: 36
; NumVGPRsForWavesPerEU: 256
; Occupancy: 1
; WaveLimiterHint : 1
; COMPUTE_PGM_RSRC2:SCRATCH_EN: 1
; COMPUTE_PGM_RSRC2:USER_SGPR: 6
; COMPUTE_PGM_RSRC2:TRAP_HANDLER: 0
; COMPUTE_PGM_RSRC2:TGID_X_EN: 1
; COMPUTE_PGM_RSRC2:TGID_Y_EN: 0
; COMPUTE_PGM_RSRC2:TGID_Z_EN: 0
; COMPUTE_PGM_RSRC2:TIDIG_COMP_CNT: 0
	.type	__hip_cuid_e39ddc4cbd97e997,@object ; @__hip_cuid_e39ddc4cbd97e997
	.section	.bss,"aw",@nobits
	.globl	__hip_cuid_e39ddc4cbd97e997
__hip_cuid_e39ddc4cbd97e997:
	.byte	0                               ; 0x0
	.size	__hip_cuid_e39ddc4cbd97e997, 1

	.ident	"AMD clang version 19.0.0git (https://github.com/RadeonOpenCompute/llvm-project roc-6.4.0 25133 c7fe45cf4b819c5991fe208aaa96edf142730f1d)"
	.section	".note.GNU-stack","",@progbits
	.addrsig
	.addrsig_sym __hip_cuid_e39ddc4cbd97e997
	.amdgpu_metadata
---
amdhsa.kernels:
  - .args:
      - .actual_access:  read_only
        .address_space:  global
        .offset:         0
        .size:           8
        .value_kind:     global_buffer
      - .offset:         8
        .size:           8
        .value_kind:     by_value
      - .actual_access:  read_only
        .address_space:  global
        .offset:         16
        .size:           8
        .value_kind:     global_buffer
      - .actual_access:  read_only
        .address_space:  global
        .offset:         24
        .size:           8
        .value_kind:     global_buffer
      - .offset:         32
        .size:           8
        .value_kind:     by_value
      - .actual_access:  read_only
        .address_space:  global
        .offset:         40
        .size:           8
        .value_kind:     global_buffer
      - .actual_access:  read_only
        .address_space:  global
        .offset:         48
        .size:           8
        .value_kind:     global_buffer
      - .offset:         56
        .size:           4
        .value_kind:     by_value
      - .actual_access:  read_only
        .address_space:  global
        .offset:         64
        .size:           8
        .value_kind:     global_buffer
      - .actual_access:  read_only
        .address_space:  global
        .offset:         72
        .size:           8
        .value_kind:     global_buffer
      - .address_space:  global
        .offset:         80
        .size:           8
        .value_kind:     global_buffer
    .group_segment_fixed_size: 0
    .kernarg_segment_align: 8
    .kernarg_segment_size: 88
    .language:       OpenCL C
    .language_version:
      - 2
      - 0
    .max_flat_workgroup_size: 60
    .name:           fft_rtc_back_len2160_factors_10_6_6_6_wgs_60_tpt_60_halfLds_dp_ip_CI_unitstride_sbrr_C2R_dirReg
    .private_segment_fixed_size: 12
    .sgpr_count:     36
    .sgpr_spill_count: 0
    .symbol:         fft_rtc_back_len2160_factors_10_6_6_6_wgs_60_tpt_60_halfLds_dp_ip_CI_unitstride_sbrr_C2R_dirReg.kd
    .uniform_work_group_size: 1
    .uses_dynamic_stack: false
    .vgpr_count:     256
    .vgpr_spill_count: 2
    .wavefront_size: 64
amdhsa.target:   amdgcn-amd-amdhsa--gfx906
amdhsa.version:
  - 1
  - 2
...

	.end_amdgpu_metadata
